;; amdgpu-corpus repo=ROCm/rocFFT kind=compiled arch=gfx906 opt=O3
	.text
	.amdgcn_target "amdgcn-amd-amdhsa--gfx906"
	.amdhsa_code_object_version 6
	.protected	fft_rtc_back_len952_factors_17_4_2_7_wgs_204_tpt_68_halfLds_dp_op_CI_CI_unitstride_sbrr_R2C_dirReg ; -- Begin function fft_rtc_back_len952_factors_17_4_2_7_wgs_204_tpt_68_halfLds_dp_op_CI_CI_unitstride_sbrr_R2C_dirReg
	.globl	fft_rtc_back_len952_factors_17_4_2_7_wgs_204_tpt_68_halfLds_dp_op_CI_CI_unitstride_sbrr_R2C_dirReg
	.p2align	8
	.type	fft_rtc_back_len952_factors_17_4_2_7_wgs_204_tpt_68_halfLds_dp_op_CI_CI_unitstride_sbrr_R2C_dirReg,@function
fft_rtc_back_len952_factors_17_4_2_7_wgs_204_tpt_68_halfLds_dp_op_CI_CI_unitstride_sbrr_R2C_dirReg: ; @fft_rtc_back_len952_factors_17_4_2_7_wgs_204_tpt_68_halfLds_dp_op_CI_CI_unitstride_sbrr_R2C_dirReg
; %bb.0:
	s_load_dwordx4 s[8:11], s[4:5], 0x58
	s_load_dwordx4 s[12:15], s[4:5], 0x0
	;; [unrolled: 1-line block ×3, first 2 shown]
	v_mul_u32_u24_e32 v1, 0x3c4, v0
	s_mov_b64 s[62:63], s[2:3]
	v_lshrrev_b32_e32 v1, 16, v1
	s_mov_b64 s[60:61], s[0:1]
	v_mad_u64_u32 v[3:4], s[0:1], s6, 3, v[1:2]
	v_mov_b32_e32 v5, 0
	v_mov_b32_e32 v1, 0
	;; [unrolled: 1-line block ×3, first 2 shown]
	s_waitcnt lgkmcnt(0)
	v_cmp_lt_u64_e64 s[0:1], s[14:15], 2
	v_mov_b32_e32 v2, 0
	s_add_u32 s60, s60, s7
	v_mov_b32_e32 v113, v2
	v_mov_b32_e32 v117, v4
	s_addc_u32 s61, s61, 0
	s_and_b64 vcc, exec, s[0:1]
	v_mov_b32_e32 v112, v1
	v_mov_b32_e32 v116, v3
	s_cbranch_vccnz .LBB0_8
; %bb.1:
	s_load_dwordx2 s[0:1], s[4:5], 0x10
	s_add_u32 s2, s18, 8
	s_addc_u32 s3, s19, 0
	s_add_u32 s6, s16, 8
	v_mov_b32_e32 v1, 0
	s_addc_u32 s7, s17, 0
	v_mov_b32_e32 v2, 0
	s_waitcnt lgkmcnt(0)
	s_add_u32 s20, s0, 8
	v_mov_b32_e32 v113, v2
	v_mov_b32_e32 v8, v4
	s_addc_u32 s21, s1, 0
	s_mov_b64 s[22:23], 1
	v_mov_b32_e32 v112, v1
	v_mov_b32_e32 v7, v3
.LBB0_2:                                ; =>This Inner Loop Header: Depth=1
	s_load_dwordx2 s[24:25], s[20:21], 0x0
                                        ; implicit-def: $vgpr116_vgpr117
	s_waitcnt lgkmcnt(0)
	v_or_b32_e32 v6, s25, v8
	v_cmp_ne_u64_e32 vcc, 0, v[5:6]
	s_and_saveexec_b64 s[0:1], vcc
	s_xor_b64 s[26:27], exec, s[0:1]
	s_cbranch_execz .LBB0_4
; %bb.3:                                ;   in Loop: Header=BB0_2 Depth=1
	v_cvt_f32_u32_e32 v4, s24
	v_cvt_f32_u32_e32 v6, s25
	s_sub_u32 s0, 0, s24
	s_subb_u32 s1, 0, s25
	v_mac_f32_e32 v4, 0x4f800000, v6
	v_rcp_f32_e32 v4, v4
	v_mul_f32_e32 v4, 0x5f7ffffc, v4
	v_mul_f32_e32 v6, 0x2f800000, v4
	v_trunc_f32_e32 v6, v6
	v_mac_f32_e32 v4, 0xcf800000, v6
	v_cvt_u32_f32_e32 v6, v6
	v_cvt_u32_f32_e32 v4, v4
	v_mul_lo_u32 v9, s0, v6
	v_mul_hi_u32 v10, s0, v4
	v_mul_lo_u32 v12, s1, v4
	v_mul_lo_u32 v11, s0, v4
	v_add_u32_e32 v9, v10, v9
	v_add_u32_e32 v9, v9, v12
	v_mul_hi_u32 v10, v4, v11
	v_mul_lo_u32 v12, v4, v9
	v_mul_hi_u32 v14, v4, v9
	v_mul_hi_u32 v13, v6, v11
	v_mul_lo_u32 v11, v6, v11
	v_mul_hi_u32 v15, v6, v9
	v_add_co_u32_e32 v10, vcc, v10, v12
	v_addc_co_u32_e32 v12, vcc, 0, v14, vcc
	v_mul_lo_u32 v9, v6, v9
	v_add_co_u32_e32 v10, vcc, v10, v11
	v_addc_co_u32_e32 v10, vcc, v12, v13, vcc
	v_addc_co_u32_e32 v11, vcc, 0, v15, vcc
	v_add_co_u32_e32 v9, vcc, v10, v9
	v_addc_co_u32_e32 v10, vcc, 0, v11, vcc
	v_add_co_u32_e32 v4, vcc, v4, v9
	v_addc_co_u32_e32 v6, vcc, v6, v10, vcc
	v_mul_lo_u32 v9, s0, v6
	v_mul_hi_u32 v10, s0, v4
	v_mul_lo_u32 v11, s1, v4
	v_mul_lo_u32 v12, s0, v4
	v_add_u32_e32 v9, v10, v9
	v_add_u32_e32 v9, v9, v11
	v_mul_lo_u32 v13, v4, v9
	v_mul_hi_u32 v14, v4, v12
	v_mul_hi_u32 v15, v4, v9
	;; [unrolled: 1-line block ×3, first 2 shown]
	v_mul_lo_u32 v12, v6, v12
	v_mul_hi_u32 v10, v6, v9
	v_add_co_u32_e32 v13, vcc, v14, v13
	v_addc_co_u32_e32 v14, vcc, 0, v15, vcc
	v_mul_lo_u32 v9, v6, v9
	v_add_co_u32_e32 v12, vcc, v13, v12
	v_addc_co_u32_e32 v11, vcc, v14, v11, vcc
	v_addc_co_u32_e32 v10, vcc, 0, v10, vcc
	v_add_co_u32_e32 v9, vcc, v11, v9
	v_addc_co_u32_e32 v10, vcc, 0, v10, vcc
	v_add_co_u32_e32 v4, vcc, v4, v9
	v_addc_co_u32_e32 v6, vcc, v6, v10, vcc
	v_mad_u64_u32 v[9:10], s[0:1], v7, v6, 0
	v_mul_hi_u32 v11, v7, v4
	v_add_co_u32_e32 v13, vcc, v11, v9
	v_addc_co_u32_e32 v14, vcc, 0, v10, vcc
	v_mad_u64_u32 v[9:10], s[0:1], v8, v4, 0
	v_mad_u64_u32 v[11:12], s[0:1], v8, v6, 0
	v_add_co_u32_e32 v4, vcc, v13, v9
	v_addc_co_u32_e32 v4, vcc, v14, v10, vcc
	v_addc_co_u32_e32 v6, vcc, 0, v12, vcc
	v_add_co_u32_e32 v4, vcc, v4, v11
	v_addc_co_u32_e32 v6, vcc, 0, v6, vcc
	v_mul_lo_u32 v11, s25, v4
	v_mul_lo_u32 v12, s24, v6
	v_mad_u64_u32 v[9:10], s[0:1], s24, v4, 0
	v_add3_u32 v10, v10, v12, v11
	v_sub_u32_e32 v11, v8, v10
	v_mov_b32_e32 v12, s25
	v_sub_co_u32_e32 v9, vcc, v7, v9
	v_subb_co_u32_e64 v11, s[0:1], v11, v12, vcc
	v_subrev_co_u32_e64 v12, s[0:1], s24, v9
	v_subbrev_co_u32_e64 v11, s[0:1], 0, v11, s[0:1]
	v_cmp_le_u32_e64 s[0:1], s25, v11
	v_cndmask_b32_e64 v13, 0, -1, s[0:1]
	v_cmp_le_u32_e64 s[0:1], s24, v12
	v_cndmask_b32_e64 v12, 0, -1, s[0:1]
	v_cmp_eq_u32_e64 s[0:1], s25, v11
	v_cndmask_b32_e64 v11, v13, v12, s[0:1]
	v_add_co_u32_e64 v12, s[0:1], 2, v4
	v_addc_co_u32_e64 v13, s[0:1], 0, v6, s[0:1]
	v_add_co_u32_e64 v14, s[0:1], 1, v4
	v_addc_co_u32_e64 v15, s[0:1], 0, v6, s[0:1]
	v_subb_co_u32_e32 v10, vcc, v8, v10, vcc
	v_cmp_ne_u32_e64 s[0:1], 0, v11
	v_cmp_le_u32_e32 vcc, s25, v10
	v_cndmask_b32_e64 v11, v15, v13, s[0:1]
	v_cndmask_b32_e64 v13, 0, -1, vcc
	v_cmp_le_u32_e32 vcc, s24, v9
	v_cndmask_b32_e64 v9, 0, -1, vcc
	v_cmp_eq_u32_e32 vcc, s25, v10
	v_cndmask_b32_e32 v9, v13, v9, vcc
	v_cmp_ne_u32_e32 vcc, 0, v9
	v_cndmask_b32_e32 v117, v6, v11, vcc
	v_cndmask_b32_e64 v6, v14, v12, s[0:1]
	v_cndmask_b32_e32 v116, v4, v6, vcc
.LBB0_4:                                ;   in Loop: Header=BB0_2 Depth=1
	s_andn2_saveexec_b64 s[0:1], s[26:27]
	s_cbranch_execz .LBB0_6
; %bb.5:                                ;   in Loop: Header=BB0_2 Depth=1
	v_cvt_f32_u32_e32 v4, s24
	s_sub_i32 s26, 0, s24
	v_mov_b32_e32 v117, v5
	v_rcp_iflag_f32_e32 v4, v4
	v_mul_f32_e32 v4, 0x4f7ffffe, v4
	v_cvt_u32_f32_e32 v4, v4
	v_mul_lo_u32 v6, s26, v4
	v_mul_hi_u32 v6, v4, v6
	v_add_u32_e32 v4, v4, v6
	v_mul_hi_u32 v4, v7, v4
	v_mul_lo_u32 v6, v4, s24
	v_add_u32_e32 v9, 1, v4
	v_sub_u32_e32 v6, v7, v6
	v_subrev_u32_e32 v10, s24, v6
	v_cmp_le_u32_e32 vcc, s24, v6
	v_cndmask_b32_e32 v6, v6, v10, vcc
	v_cndmask_b32_e32 v4, v4, v9, vcc
	v_add_u32_e32 v9, 1, v4
	v_cmp_le_u32_e32 vcc, s24, v6
	v_cndmask_b32_e32 v116, v4, v9, vcc
.LBB0_6:                                ;   in Loop: Header=BB0_2 Depth=1
	s_or_b64 exec, exec, s[0:1]
	v_mul_lo_u32 v4, v117, s24
	v_mul_lo_u32 v6, v116, s25
	v_mad_u64_u32 v[9:10], s[0:1], v116, s24, 0
	s_load_dwordx2 s[0:1], s[6:7], 0x0
	s_load_dwordx2 s[24:25], s[2:3], 0x0
	v_add3_u32 v4, v10, v6, v4
	v_sub_co_u32_e32 v6, vcc, v7, v9
	v_subb_co_u32_e32 v4, vcc, v8, v4, vcc
	s_waitcnt lgkmcnt(0)
	v_mul_lo_u32 v7, s0, v4
	v_mul_lo_u32 v8, s1, v6
	v_mad_u64_u32 v[1:2], s[0:1], s0, v6, v[1:2]
	s_add_u32 s22, s22, 1
	s_addc_u32 s23, s23, 0
	s_add_u32 s2, s2, 8
	v_mul_lo_u32 v4, s24, v4
	v_mul_lo_u32 v9, s25, v6
	v_mad_u64_u32 v[112:113], s[0:1], s24, v6, v[112:113]
	v_add3_u32 v2, v8, v2, v7
	s_addc_u32 s3, s3, 0
	v_mov_b32_e32 v6, s14
	s_add_u32 s6, s6, 8
	v_mov_b32_e32 v7, s15
	s_addc_u32 s7, s7, 0
	v_cmp_ge_u64_e32 vcc, s[22:23], v[6:7]
	s_add_u32 s20, s20, 8
	v_add3_u32 v113, v9, v113, v4
	s_addc_u32 s21, s21, 0
	s_cbranch_vccnz .LBB0_8
; %bb.7:                                ;   in Loop: Header=BB0_2 Depth=1
	v_mov_b32_e32 v7, v116
	v_mov_b32_e32 v8, v117
	s_branch .LBB0_2
.LBB0_8:
	s_mov_b32 s0, 0xaaaaaaab
	s_load_dwordx2 s[4:5], s[4:5], 0x28
	v_mul_hi_u32 v4, v3, s0
	s_lshl_b64 s[6:7], s[14:15], 3
	s_add_u32 s2, s18, s6
	s_addc_u32 s3, s19, s7
	v_lshrrev_b32_e32 v4, 1, v4
	v_lshl_add_u32 v4, v4, 1, v4
	s_waitcnt lgkmcnt(0)
	v_cmp_gt_u64_e64 s[0:1], s[4:5], v[116:117]
	v_cmp_le_u64_e32 vcc, s[4:5], v[116:117]
	v_sub_u32_e32 v3, v3, v4
                                        ; implicit-def: $vgpr114
	s_and_saveexec_b64 s[4:5], vcc
	s_xor_b64 s[4:5], exec, s[4:5]
; %bb.9:
	s_mov_b32 s14, 0x3c3c3c4
	v_mul_hi_u32 v1, v0, s14
	v_mul_u32_u24_e32 v1, 0x44, v1
	v_sub_u32_e32 v114, v0, v1
                                        ; implicit-def: $vgpr0
                                        ; implicit-def: $vgpr1_vgpr2
; %bb.10:
	s_or_saveexec_b64 s[4:5], s[4:5]
	v_mul_u32_u24_e32 v3, 0x3b9, v3
	v_lshlrev_b32_e32 v218, 4, v3
	s_xor_b64 exec, exec, s[4:5]
	s_cbranch_execz .LBB0_12
; %bb.11:
	s_add_u32 s6, s16, s6
	s_addc_u32 s7, s17, s7
	s_load_dwordx2 s[6:7], s[6:7], 0x0
	s_mov_b32 s14, 0x3c3c3c4
	v_mul_hi_u32 v5, v0, s14
	s_waitcnt lgkmcnt(0)
	v_mul_lo_u32 v6, s7, v116
	v_mul_lo_u32 v7, s6, v117
	v_mad_u64_u32 v[3:4], s[6:7], s6, v116, 0
	v_mul_u32_u24_e32 v5, 0x44, v5
	v_sub_u32_e32 v114, v0, v5
	v_add3_u32 v4, v4, v7, v6
	v_lshlrev_b64 v[3:4], 4, v[3:4]
	v_mov_b32_e32 v0, s9
	v_add_co_u32_e32 v3, vcc, s8, v3
	v_addc_co_u32_e32 v4, vcc, v0, v4, vcc
	v_lshlrev_b64 v[0:1], 4, v[1:2]
	v_lshlrev_b32_e32 v60, 4, v114
	v_add_co_u32_e32 v0, vcc, v3, v0
	v_addc_co_u32_e32 v1, vcc, v4, v1, vcc
	v_add_co_u32_e32 v40, vcc, v0, v60
	v_addc_co_u32_e32 v41, vcc, 0, v1, vcc
	s_movk_i32 s6, 0x1000
	v_add_co_u32_e32 v32, vcc, s6, v40
	v_addc_co_u32_e32 v33, vcc, 0, v41, vcc
	s_movk_i32 s6, 0x2000
	v_add_co_u32_e32 v56, vcc, s6, v40
	v_addc_co_u32_e32 v57, vcc, 0, v41, vcc
	v_add_co_u32_e32 v58, vcc, 0x3000, v40
	global_load_dwordx4 v[0:3], v[40:41], off
	global_load_dwordx4 v[4:7], v[40:41], off offset:1088
	global_load_dwordx4 v[8:11], v[40:41], off offset:2176
	;; [unrolled: 1-line block ×7, first 2 shown]
	s_nop 0
	global_load_dwordx4 v[32:35], v[56:57], off offset:512
	global_load_dwordx4 v[36:39], v[56:57], off offset:1600
	v_addc_co_u32_e32 v59, vcc, 0, v41, vcc
	global_load_dwordx4 v[40:43], v[56:57], off offset:2688
	global_load_dwordx4 v[44:47], v[56:57], off offset:3776
	;; [unrolled: 1-line block ×4, first 2 shown]
	v_add3_u32 v56, 0, v218, v60
	s_waitcnt vmcnt(13)
	ds_write_b128 v56, v[0:3]
	s_waitcnt vmcnt(12)
	ds_write_b128 v56, v[4:7] offset:1088
	s_waitcnt vmcnt(11)
	ds_write_b128 v56, v[8:11] offset:2176
	;; [unrolled: 2-line block ×13, first 2 shown]
.LBB0_12:
	s_or_b64 exec, exec, s[4:5]
	v_lshlrev_b32_e32 v219, 4, v114
	v_add_u32_e32 v0, 0, v219
	v_add_u32_e32 v217, v0, v218
	;; [unrolled: 1-line block ×3, first 2 shown]
	s_waitcnt lgkmcnt(0)
	s_barrier
	ds_read_b128 v[16:19], v217 offset:14336
	ds_read_b128 v[28:31], v217 offset:896
	v_add_u32_e32 v216, v249, v219
	ds_read_b128 v[24:27], v216
	ds_read_b128 v[20:23], v217 offset:13440
	ds_read_b128 v[40:43], v217 offset:1792
	;; [unrolled: 1-line block ×4, first 2 shown]
	s_waitcnt lgkmcnt(5)
	v_add_f64 v[126:127], v[30:31], v[18:19]
	s_mov_b32 s28, 0x2b2883cd
	s_mov_b32 s18, 0x6c9a05f6
	s_waitcnt lgkmcnt(2)
	v_add_f64 v[124:125], v[42:43], -v[22:23]
	s_mov_b32 s29, 0x3fdc86fa
	s_mov_b32 s19, 0xbfe9895b
	v_add_f64 v[128:129], v[42:43], v[22:23]
	s_waitcnt lgkmcnt(0)
	v_add_f64 v[132:133], v[38:39], -v[34:35]
	v_mul_f64 v[10:11], v[126:127], s[28:29]
	s_mov_b32 s16, 0x6ed5f1bb
	s_mov_b32 s24, 0xacd6c6b4
	v_mul_f64 v[12:13], v[124:125], s[18:19]
	s_mov_b32 s17, 0xbfe348c8
	ds_read_b128 v[44:47], v217 offset:11648
	ds_read_b128 v[52:55], v217 offset:3584
	;; [unrolled: 1-line block ×4, first 2 shown]
	s_mov_b32 s25, 0xbfc7851a
	ds_read_b128 v[60:63], v217 offset:9856
	ds_read_b128 v[68:71], v217 offset:5376
	;; [unrolled: 1-line block ×4, first 2 shown]
	buffer_store_dword v10, off, s[60:63], 0 offset:56 ; 4-byte Folded Spill
	s_nop 0
	buffer_store_dword v11, off, s[60:63], 0 offset:60 ; 4-byte Folded Spill
	s_mov_b32 s53, 0x3fc7851a
	s_mov_b32 s52, s24
	v_mul_f64 v[14:15], v[128:129], s[16:17]
	ds_read_b128 v[80:83], v217 offset:7168
	ds_read_b128 v[76:79], v217 offset:8064
	buffer_store_dword v12, off, s[60:63], 0 offset:16 ; 4-byte Folded Spill
	s_nop 0
	buffer_store_dword v13, off, s[60:63], 0 offset:20 ; 4-byte Folded Spill
	v_mul_f64 v[84:85], v[132:133], s[52:53]
	buffer_store_dword v14, off, s[60:63], 0 offset:64 ; 4-byte Folded Spill
	s_nop 0
	buffer_store_dword v15, off, s[60:63], 0 offset:68 ; 4-byte Folded Spill
	buffer_store_dword v84, off, s[60:63], 0 offset:24 ; 4-byte Folded Spill
	s_nop 0
	buffer_store_dword v85, off, s[60:63], 0 offset:28 ; 4-byte Folded Spill
	v_add_f64 v[118:119], v[30:31], -v[18:19]
	s_mov_b32 s34, 0x7c9e640b
	s_mov_b32 s35, 0xbfeca52d
	v_add_f64 v[120:121], v[28:29], v[16:17]
	v_add_f64 v[122:123], v[40:41], v[20:21]
	;; [unrolled: 1-line block ×4, first 2 shown]
	s_waitcnt lgkmcnt(8)
	v_add_f64 v[150:151], v[54:55], -v[46:47]
	v_mul_f64 v[246:247], v[118:119], s[34:35]
	s_mov_b32 s20, 0x7faef3
	s_mov_b32 s30, 0x923c349f
	;; [unrolled: 1-line block ×6, first 2 shown]
	v_mul_f64 v[86:87], v[134:135], s[20:21]
	v_fma_f64 v[8:9], v[120:121], s[28:29], -v[246:247]
	buffer_store_dword v86, off, s[60:63], 0 offset:48 ; 4-byte Folded Spill
	s_nop 0
	buffer_store_dword v87, off, s[60:63], 0 offset:52 ; 4-byte Folded Spill
	v_add_f64 v[8:9], v[24:25], v[8:9]
	v_add_f64 v[146:147], v[28:29], -v[16:17]
	v_add_f64 v[148:149], v[40:41], -v[20:21]
	;; [unrolled: 1-line block ×3, first 2 shown]
	v_add_f64 v[142:143], v[54:55], v[46:47]
	v_add_f64 v[140:141], v[52:53], v[44:45]
	s_waitcnt lgkmcnt(6)
	v_add_f64 v[156:157], v[50:51], -v[58:59]
	s_mov_b32 s4, 0x2a9d6da3
	s_mov_b32 s26, 0xc61f0d01
	;; [unrolled: 1-line block ×6, first 2 shown]
	v_add_f64 v[158:159], v[52:53], -v[44:45]
	v_add_f64 v[154:155], v[50:51], v[58:59]
	v_add_f64 v[152:153], v[48:49], v[56:57]
	s_mov_b32 s8, 0x75d4884
	s_mov_b32 s14, 0xeb564b22
	;; [unrolled: 1-line block ×4, first 2 shown]
	v_mul_f64 v[102:103], v[118:119], s[4:5]
	v_mul_f64 v[104:105], v[124:125], s[14:15]
	;; [unrolled: 1-line block ×3, first 2 shown]
	s_mov_b32 s6, 0x3259b75e
	s_mov_b32 s7, 0x3fb79ee6
	v_mul_f64 v[220:221], v[128:129], s[6:7]
	v_mul_f64 v[222:223], v[132:133], s[18:19]
	;; [unrolled: 1-line block ×3, first 2 shown]
	v_fma_f64 v[0:1], v[120:121], s[8:9], -v[102:103]
	v_fma_f64 v[2:3], v[122:123], s[6:7], -v[104:105]
	v_fma_f64 v[4:5], v[146:147], s[4:5], v[224:225]
	s_mov_b32 s40, 0x4363dd80
	s_mov_b32 s41, 0x3fe0d888
	v_mul_f64 v[226:227], v[156:157], s[40:41]
	s_waitcnt lgkmcnt(4)
	v_add_f64 v[184:185], v[70:71], -v[62:63]
	s_mov_b32 s22, 0x910ea3b9
	v_add_f64 v[0:1], v[24:25], v[0:1]
	s_mov_b32 s23, 0xbfeb34fa
	v_add_f64 v[174:175], v[68:69], v[60:61]
	s_waitcnt lgkmcnt(2)
	v_add_f64 v[186:187], v[66:67], -v[74:75]
	v_fma_f64 v[10:11], v[146:147], s[34:35], v[10:11]
	s_mov_b32 s49, 0x3feca52d
	v_mul_f64 v[232:233], v[184:185], s[46:47]
	s_mov_b32 s48, s34
	v_add_f64 v[0:1], v[2:3], v[0:1]
	v_fma_f64 v[12:13], v[122:123], s[16:17], -v[12:13]
	v_add_f64 v[2:3], v[26:27], v[4:5]
	v_fma_f64 v[4:5], v[148:149], s[14:15], v[220:221]
	v_add_f64 v[10:11], v[26:27], v[10:11]
	v_add_f64 v[178:179], v[64:65], v[72:73]
	v_mul_f64 v[234:235], v[186:187], s[48:49]
	v_fma_f64 v[14:15], v[148:149], s[18:19], v[14:15]
	s_waitcnt lgkmcnt(0)
	v_add_f64 v[202:203], v[82:83], -v[78:79]
	v_add_f64 v[8:9], v[12:13], v[8:9]
	v_fma_f64 v[12:13], v[130:131], s[20:21], -v[84:85]
	v_mul_f64 v[84:85], v[150:151], s[46:47]
	buffer_store_dword v84, off, s[60:63], 0 ; 4-byte Folded Spill
	s_nop 0
	buffer_store_dword v85, off, s[60:63], 0 offset:4 ; 4-byte Folded Spill
	v_add_f64 v[10:11], v[14:15], v[10:11]
	v_add_f64 v[8:9], v[12:13], v[8:9]
	;; [unrolled: 1-line block ×3, first 2 shown]
	v_fma_f64 v[4:5], v[130:131], s[16:17], -v[222:223]
	s_mov_b32 s50, 0x5d8e7cdc
	s_mov_b32 s51, 0x3fd71e95
	v_add_f64 v[198:199], v[80:81], v[76:77]
	v_mul_f64 v[238:239], v[202:203], s[50:51]
	s_mov_b32 s36, 0x370991
	s_mov_b32 s37, 0x3fedd6d0
	;; [unrolled: 1-line block ×3, first 2 shown]
	v_add_f64 v[0:1], v[4:5], v[0:1]
	v_fma_f64 v[4:5], v[140:141], s[20:21], -v[106:107]
	s_mov_b32 s42, s50
	v_fma_f64 v[14:15], v[138:139], s[52:53], v[86:87]
	v_mul_f64 v[86:87], v[142:143], s[26:27]
	buffer_store_dword v86, off, s[60:63], 0 offset:32 ; 4-byte Folded Spill
	s_nop 0
	buffer_store_dword v87, off, s[60:63], 0 offset:36 ; 4-byte Folded Spill
	v_add_f64 v[10:11], v[14:15], v[10:11]
	v_add_f64 v[0:1], v[4:5], v[0:1]
	v_fma_f64 v[4:5], v[152:153], s[22:23], -v[226:227]
	v_add_f64 v[172:173], v[48:49], -v[56:57]
	v_add_f64 v[176:177], v[70:71], v[62:63]
	v_mul_f64 v[92:93], v[132:133], s[46:47]
	v_mul_f64 v[88:89], v[186:187], s[14:15]
	;; [unrolled: 1-line block ×5, first 2 shown]
	v_add_f64 v[0:1], v[4:5], v[0:1]
	v_fma_f64 v[4:5], v[174:175], s[26:27], -v[232:233]
	v_add_f64 v[188:189], v[68:69], -v[60:61]
	v_mul_f64 v[240:241], v[176:177], s[26:27]
	v_add_f64 v[180:181], v[66:67], v[74:75]
	v_fma_f64 v[6:7], v[138:139], s[18:19], v[228:229]
	v_add_f64 v[194:195], v[64:65], -v[72:73]
	v_add_f64 v[192:193], v[82:83], v[78:79]
	v_add_f64 v[204:205], v[80:81], -v[76:77]
	v_add_f64 v[0:1], v[4:5], v[0:1]
	v_fma_f64 v[4:5], v[178:179], s[28:29], -v[234:235]
	s_mov_b32 s45, 0xbfe0d888
	v_mul_f64 v[242:243], v[180:181], s[28:29]
	v_add_f64 v[2:3], v[6:7], v[2:3]
	v_fma_f64 v[6:7], v[158:159], s[24:25], v[230:231]
	v_mul_f64 v[90:91], v[180:181], s[6:7]
	v_mul_f64 v[244:245], v[192:193], s[36:37]
	s_mov_b32 s44, s40
	v_add_f64 v[0:1], v[4:5], v[0:1]
	v_fma_f64 v[4:5], v[198:199], s[36:37], -v[238:239]
	v_mul_f64 v[254:255], v[126:127], s[6:7]
	v_mul_f64 v[144:145], v[128:129], s[20:21]
	v_add_f64 v[2:3], v[6:7], v[2:3]
	v_fma_f64 v[6:7], v[172:173], s[40:41], v[236:237]
	v_mul_f64 v[162:163], v[134:135], s[26:27]
	v_mul_f64 v[252:253], v[150:151], s[50:51]
	;; [unrolled: 1-line block ×3, first 2 shown]
	v_add_f64 v[0:1], v[4:5], v[0:1]
	v_mul_f64 v[136:137], v[156:157], s[34:35]
	v_mul_f64 v[170:171], v[154:155], s[28:29]
	;; [unrolled: 1-line block ×3, first 2 shown]
	v_add_f64 v[2:3], v[6:7], v[2:3]
	v_fma_f64 v[6:7], v[188:189], s[46:47], v[240:241]
	s_mov_b32 s57, 0x3fe9895b
	s_mov_b32 s56, s18
	v_mul_f64 v[182:183], v[176:177], s[22:23]
	v_mul_f64 v[164:165], v[186:187], s[56:57]
	;; [unrolled: 1-line block ×5, first 2 shown]
	v_add_f64 v[2:3], v[6:7], v[2:3]
	v_fma_f64 v[6:7], v[194:195], s[48:49], v[242:243]
	v_mul_f64 v[108:109], v[118:119], s[30:31]
	v_mul_f64 v[110:111], v[124:125], s[40:41]
	v_fma_f64 v[12:13], v[140:141], s[26:27], -v[84:85]
	v_mul_f64 v[84:85], v[156:157], s[54:55]
	buffer_store_dword v84, off, s[60:63], 0 offset:8 ; 4-byte Folded Spill
	s_nop 0
	buffer_store_dword v85, off, s[60:63], 0 offset:12 ; 4-byte Folded Spill
	v_add_f64 v[8:9], v[12:13], v[8:9]
	v_add_f64 v[2:3], v[6:7], v[2:3]
	v_fma_f64 v[6:7], v[204:205], s[50:51], v[244:245]
	v_mul_f64 v[210:211], v[128:129], s[22:23]
	v_mul_f64 v[250:251], v[192:193], s[22:23]
	;; [unrolled: 1-line block ×5, first 2 shown]
	s_mov_b32 s59, 0x3fefdd0d
	s_mov_b32 s58, s14
	v_add_f64 v[2:3], v[6:7], v[2:3]
	v_mul_f64 v[206:207], v[184:185], s[58:59]
	v_mul_f64 v[96:97], v[176:177], s[6:7]
	;; [unrolled: 1-line block ×3, first 2 shown]
	v_fma_f64 v[14:15], v[158:159], s[46:47], v[86:87]
	v_mul_f64 v[86:87], v[154:155], s[8:9]
	buffer_store_dword v86, off, s[60:63], 0 offset:40 ; 4-byte Folded Spill
	s_nop 0
	buffer_store_dword v87, off, s[60:63], 0 offset:44 ; 4-byte Folded Spill
	v_add_f64 v[10:11], v[14:15], v[10:11]
	v_mul_f64 v[98:99], v[180:181], s[36:37]
	v_mul_f64 v[214:215], v[192:193], s[16:17]
	v_cmp_gt_u32_e32 vcc, 56, v114
	v_fma_f64 v[12:13], v[152:153], s[8:9], -v[84:85]
	v_mul_f64 v[84:85], v[118:119], s[14:15]
	buffer_store_dword v84, off, s[60:63], 0 offset:112 ; 4-byte Folded Spill
	s_nop 0
	buffer_store_dword v85, off, s[60:63], 0 offset:116 ; 4-byte Folded Spill
	v_add_f64 v[4:5], v[12:13], v[8:9]
	v_mul_f64 v[12:13], v[124:125], s[24:25]
	buffer_store_dword v12, off, s[60:63], 0 offset:120 ; 4-byte Folded Spill
	s_nop 0
	buffer_store_dword v13, off, s[60:63], 0 offset:124 ; 4-byte Folded Spill
	v_fma_f64 v[14:15], v[172:173], s[54:55], v[86:87]
	v_mul_f64 v[86:87], v[176:177], s[36:37]
	v_add_f64 v[6:7], v[14:15], v[10:11]
	v_fma_f64 v[10:11], v[146:147], s[14:15], v[254:255]
	v_fma_f64 v[14:15], v[148:149], s[24:25], v[144:145]
	v_add_f64 v[10:11], v[26:27], v[10:11]
	v_add_f64 v[10:11], v[14:15], v[10:11]
	v_fma_f64 v[14:15], v[138:139], s[46:47], v[162:163]
	v_add_f64 v[10:11], v[14:15], v[10:11]
	v_fma_f64 v[14:15], v[158:159], s[50:51], v[166:167]
	;; [unrolled: 2-line block ×5, first 2 shown]
	v_fma_f64 v[8:9], v[120:121], s[6:7], -v[84:85]
	v_mul_f64 v[84:85], v[184:185], s[42:43]
	buffer_store_dword v84, off, s[60:63], 0 offset:80 ; 4-byte Folded Spill
	s_nop 0
	buffer_store_dword v85, off, s[60:63], 0 offset:84 ; 4-byte Folded Spill
	buffer_store_dword v86, off, s[60:63], 0 offset:104 ; 4-byte Folded Spill
	s_nop 0
	buffer_store_dword v87, off, s[60:63], 0 offset:108 ; 4-byte Folded Spill
	;; [unrolled: 3-line block ×5, first 2 shown]
	v_add_f64 v[8:9], v[24:25], v[8:9]
	v_fma_f64 v[12:13], v[122:123], s[20:21], -v[12:13]
	v_add_f64 v[10:11], v[14:15], v[10:11]
	v_fma_f64 v[14:15], v[204:205], s[54:55], v[196:197]
	v_add_f64 v[8:9], v[12:13], v[8:9]
	v_add_f64 v[10:11], v[14:15], v[10:11]
	v_fma_f64 v[14:15], v[122:123], s[22:23], -v[110:111]
	v_fma_f64 v[84:85], v[174:175], s[36:37], -v[84:85]
	v_fma_f64 v[86:87], v[188:189], s[42:43], v[86:87]
	v_fma_f64 v[12:13], v[130:131], s[26:27], -v[92:93]
	v_mul_f64 v[92:93], v[142:143], s[28:29]
	v_add_f64 v[4:5], v[84:85], v[4:5]
	v_fma_f64 v[84:85], v[178:179], s[6:7], -v[88:89]
	v_mul_f64 v[88:89], v[202:203], s[44:45]
	buffer_store_dword v88, off, s[60:63], 0 offset:88 ; 4-byte Folded Spill
	s_nop 0
	buffer_store_dword v89, off, s[60:63], 0 offset:92 ; 4-byte Folded Spill
	v_add_f64 v[8:9], v[12:13], v[8:9]
	v_fma_f64 v[12:13], v[140:141], s[36:37], -v[252:253]
	v_add_f64 v[6:7], v[86:87], v[6:7]
	v_fma_f64 v[86:87], v[194:195], s[14:15], v[90:91]
	v_mul_f64 v[90:91], v[126:127], s[26:27]
	v_add_f64 v[4:5], v[84:85], v[4:5]
	s_waitcnt vmcnt(0)
	s_barrier
	v_add_f64 v[8:9], v[12:13], v[8:9]
	v_fma_f64 v[12:13], v[152:153], s[28:29], -v[136:137]
	v_add_f64 v[6:7], v[86:87], v[6:7]
	v_fma_f64 v[86:87], v[204:205], s[44:45], v[250:251]
	v_add_f64 v[8:9], v[12:13], v[8:9]
	v_fma_f64 v[12:13], v[174:175], s[22:23], -v[160:161]
	v_add_f64 v[6:7], v[86:87], v[6:7]
	v_add_f64 v[8:9], v[12:13], v[8:9]
	v_fma_f64 v[12:13], v[178:179], s[16:17], -v[164:165]
	v_add_f64 v[8:9], v[12:13], v[8:9]
	v_fma_f64 v[12:13], v[198:199], s[8:9], -v[168:169]
	;; [unrolled: 2-line block ×3, first 2 shown]
	v_add_f64 v[12:13], v[24:25], v[12:13]
	v_add_f64 v[12:13], v[14:15], v[12:13]
	v_fma_f64 v[14:15], v[146:147], s[30:31], v[90:91]
	v_add_f64 v[14:15], v[26:27], v[14:15]
	v_fma_f64 v[84:85], v[198:199], s[22:23], -v[88:89]
	v_add_f64 v[4:5], v[84:85], v[4:5]
	v_fma_f64 v[84:85], v[148:149], s[40:41], v[210:211]
	v_add_f64 v[14:15], v[84:85], v[14:15]
	v_mul_f64 v[84:85], v[132:133], s[54:55]
	v_fma_f64 v[86:87], v[130:131], s[8:9], -v[84:85]
	v_add_f64 v[12:13], v[86:87], v[12:13]
	v_fma_f64 v[86:87], v[138:139], s[54:55], v[94:95]
	v_add_f64 v[14:15], v[86:87], v[14:15]
	v_fma_f64 v[86:87], v[140:141], s[28:29], -v[200:201]
	v_add_f64 v[12:13], v[86:87], v[12:13]
	v_fma_f64 v[86:87], v[158:159], s[34:35], v[92:93]
	v_add_f64 v[14:15], v[86:87], v[14:15]
	v_mul_f64 v[86:87], v[156:157], s[24:25]
	v_fma_f64 v[88:89], v[152:153], s[20:21], -v[86:87]
	v_add_f64 v[12:13], v[88:89], v[12:13]
	v_fma_f64 v[88:89], v[172:173], s[24:25], v[212:213]
	v_add_f64 v[14:15], v[88:89], v[14:15]
	v_fma_f64 v[88:89], v[174:175], s[6:7], -v[206:207]
	v_add_f64 v[12:13], v[88:89], v[12:13]
	v_fma_f64 v[88:89], v[188:189], s[58:59], v[96:97]
	v_add_f64 v[14:15], v[88:89], v[14:15]
	;; [unrolled: 4-line block ×3, first 2 shown]
	v_mul_f64 v[88:89], v[202:203], s[18:19]
	v_fma_f64 v[100:101], v[198:199], s[16:17], -v[88:89]
	v_add_f64 v[12:13], v[100:101], v[12:13]
	v_fma_f64 v[100:101], v[204:205], s[18:19], v[214:215]
	v_add_f64 v[14:15], v[100:101], v[14:15]
	s_and_saveexec_b64 s[38:39], vcc
	s_cbranch_execz .LBB0_14
; %bb.13:
	v_mul_f64 v[100:101], v[146:147], s[24:25]
	buffer_store_dword v102, off, s[60:63], 0 offset:256 ; 4-byte Folded Spill
	s_nop 0
	buffer_store_dword v103, off, s[60:63], 0 offset:260 ; 4-byte Folded Spill
	buffer_store_dword v104, off, s[60:63], 0 offset:240 ; 4-byte Folded Spill
	s_nop 0
	buffer_store_dword v105, off, s[60:63], 0 offset:244 ; 4-byte Folded Spill
	v_mul_f64 v[104:105], v[148:149], s[50:51]
	buffer_store_dword v106, off, s[60:63], 0 offset:168 ; 4-byte Folded Spill
	s_nop 0
	buffer_store_dword v107, off, s[60:63], 0 offset:172 ; 4-byte Folded Spill
	buffer_store_dword v220, off, s[60:63], 0 offset:296 ; 4-byte Folded Spill
	s_nop 0
	buffer_store_dword v221, off, s[60:63], 0 offset:300 ; 4-byte Folded Spill
	;; [unrolled: 3-line block ×3, first 2 shown]
	v_mov_b32_e32 v115, v219
	v_fma_f64 v[102:103], v[126:127], s[20:21], v[100:101]
	v_mul_f64 v[221:222], v[124:125], s[50:51]
	buffer_store_dword v224, off, s[60:63], 0 offset:312 ; 4-byte Folded Spill
	s_nop 0
	buffer_store_dword v225, off, s[60:63], 0 offset:316 ; 4-byte Folded Spill
	v_fma_f64 v[106:107], v[128:129], s[36:37], v[104:105]
	buffer_store_dword v226, off, s[60:63], 0 offset:192 ; 4-byte Folded Spill
	s_nop 0
	buffer_store_dword v227, off, s[60:63], 0 offset:196 ; 4-byte Folded Spill
	buffer_store_dword v228, off, s[60:63], 0 offset:288 ; 4-byte Folded Spill
	s_nop 0
	buffer_store_dword v229, off, s[60:63], 0 offset:292 ; 4-byte Folded Spill
	;; [unrolled: 3-line block ×4, first 2 shown]
	v_add_f64 v[102:103], v[26:27], v[102:103]
	v_fma_f64 v[223:224], v[122:123], s[36:37], -v[221:222]
	buffer_store_dword v234, off, s[60:63], 0 offset:184 ; 4-byte Folded Spill
	s_nop 0
	buffer_store_dword v235, off, s[60:63], 0 offset:188 ; 4-byte Folded Spill
	v_fma_f64 v[100:101], v[126:127], s[20:21], -v[100:101]
	v_fma_f64 v[104:105], v[128:129], s[36:37], -v[104:105]
	buffer_store_dword v236, off, s[60:63], 0 offset:272 ; 4-byte Folded Spill
	s_nop 0
	buffer_store_dword v237, off, s[60:63], 0 offset:276 ; 4-byte Folded Spill
	buffer_store_dword v238, off, s[60:63], 0 offset:176 ; 4-byte Folded Spill
	s_nop 0
	buffer_store_dword v239, off, s[60:63], 0 offset:180 ; 4-byte Folded Spill
	;; [unrolled: 3-line block ×3, first 2 shown]
	v_add_f64 v[102:103], v[106:107], v[102:103]
	v_mul_f64 v[106:107], v[118:119], s[24:25]
	buffer_store_dword v242, off, s[60:63], 0 offset:304 ; 4-byte Folded Spill
	s_nop 0
	buffer_store_dword v243, off, s[60:63], 0 offset:308 ; 4-byte Folded Spill
	v_add_f64 v[100:101], v[26:27], v[100:101]
	buffer_store_dword v244, off, s[60:63], 0 offset:320 ; 4-byte Folded Spill
	s_nop 0
	buffer_store_dword v245, off, s[60:63], 0 offset:324 ; 4-byte Folded Spill
	buffer_store_dword v246, off, s[60:63], 0 offset:328 ; 4-byte Folded Spill
	s_nop 0
	buffer_store_dword v247, off, s[60:63], 0 offset:332 ; 4-byte Folded Spill
	v_add_f64 v[30:31], v[26:27], v[30:31]
	v_add_f64 v[28:29], v[24:25], v[28:29]
	v_fma_f64 v[219:220], v[120:121], s[20:21], -v[106:107]
	v_add_f64 v[100:101], v[104:105], v[100:101]
	v_fma_f64 v[104:105], v[120:121], s[20:21], v[106:107]
	v_fma_f64 v[106:107], v[122:123], s[36:37], v[221:222]
	v_add_f64 v[30:31], v[30:31], v[42:43]
	v_add_f64 v[28:29], v[28:29], v[40:41]
	v_mul_f64 v[42:43], v[158:159], s[14:15]
	v_add_f64 v[219:220], v[24:25], v[219:220]
	v_add_f64 v[104:105], v[24:25], v[104:105]
	v_add_f64 v[30:31], v[30:31], v[38:39]
	v_add_f64 v[28:29], v[28:29], v[36:37]
	v_mul_f64 v[38:39], v[172:173], s[30:31]
	v_add_f64 v[219:220], v[223:224], v[219:220]
	v_mul_f64 v[223:224], v[138:139], s[44:45]
	v_add_f64 v[104:105], v[106:107], v[104:105]
	v_add_f64 v[30:31], v[30:31], v[54:55]
	;; [unrolled: 1-line block ×3, first 2 shown]
	v_fma_f64 v[54:55], v[154:155], s[26:27], v[38:39]
	v_mul_f64 v[52:53], v[188:189], s[18:19]
	v_fma_f64 v[225:226], v[134:135], s[22:23], v[223:224]
	v_fma_f64 v[106:107], v[134:135], s[22:23], -v[223:224]
	v_fma_f64 v[38:39], v[154:155], s[26:27], -v[38:39]
	v_add_f64 v[30:31], v[30:31], v[50:51]
	v_add_f64 v[48:49], v[28:29], v[48:49]
	v_mul_f64 v[50:51], v[194:195], s[44:45]
	v_add_f64 v[102:103], v[225:226], v[102:103]
	v_mul_f64 v[225:226], v[132:133], s[44:45]
	v_add_f64 v[100:101], v[106:107], v[100:101]
	v_add_f64 v[30:31], v[30:31], v[70:71]
	;; [unrolled: 1-line block ×3, first 2 shown]
	v_mul_f64 v[68:69], v[204:205], s[24:25]
	v_fma_f64 v[70:71], v[180:181], s[22:23], v[50:51]
	v_fma_f64 v[227:228], v[130:131], s[22:23], -v[225:226]
	v_fma_f64 v[106:107], v[130:131], s[22:23], v[225:226]
	v_add_f64 v[30:31], v[30:31], v[66:67]
	v_add_f64 v[48:49], v[48:49], v[64:65]
	v_mul_f64 v[64:65], v[118:119], s[42:43]
	v_mul_f64 v[66:67], v[184:185], s[18:19]
	v_add_f64 v[219:220], v[227:228], v[219:220]
	v_mul_f64 v[227:228], v[158:159], s[54:55]
	v_add_f64 v[104:105], v[106:107], v[104:105]
	v_add_f64 v[30:31], v[30:31], v[82:83]
	;; [unrolled: 1-line block ×3, first 2 shown]
	v_fma_f64 v[80:81], v[120:121], s[36:37], v[64:65]
	v_fma_f64 v[64:65], v[120:121], s[36:37], -v[64:65]
	v_mul_f64 v[82:83], v[132:133], s[34:35]
	v_fma_f64 v[229:230], v[142:143], s[8:9], v[227:228]
	v_fma_f64 v[106:107], v[142:143], s[8:9], -v[227:228]
	v_add_f64 v[30:31], v[30:31], v[78:79]
	v_add_f64 v[48:49], v[48:49], v[76:77]
	;; [unrolled: 1-line block ×3, first 2 shown]
	v_fma_f64 v[80:81], v[130:131], s[28:29], v[82:83]
	v_add_f64 v[102:103], v[229:230], v[102:103]
	v_mul_f64 v[229:230], v[150:151], s[54:55]
	v_add_f64 v[100:101], v[106:107], v[100:101]
	v_add_f64 v[30:31], v[30:31], v[74:75]
	;; [unrolled: 1-line block ×3, first 2 shown]
	v_fma_f64 v[74:75], v[130:131], s[28:29], -v[82:83]
	v_fma_f64 v[231:232], v[140:141], s[8:9], -v[229:230]
	v_fma_f64 v[106:107], v[140:141], s[8:9], v[229:230]
	v_add_f64 v[30:31], v[30:31], v[62:63]
	v_add_f64 v[48:49], v[48:49], v[60:61]
	;; [unrolled: 1-line block ×3, first 2 shown]
	v_mul_f64 v[231:232], v[172:173], s[18:19]
	v_add_f64 v[104:105], v[106:107], v[104:105]
	v_add_f64 v[30:31], v[30:31], v[58:59]
	;; [unrolled: 1-line block ×3, first 2 shown]
	v_fma_f64 v[233:234], v[154:155], s[16:17], v[231:232]
	v_fma_f64 v[106:107], v[154:155], s[16:17], -v[231:232]
	v_mul_f64 v[231:232], v[124:125], s[48:49]
	v_add_f64 v[30:31], v[30:31], v[46:47]
	v_add_f64 v[44:45], v[48:49], v[44:45]
	v_fma_f64 v[46:47], v[174:175], s[16:17], -v[66:67]
	v_fma_f64 v[48:49], v[180:181], s[22:23], -v[50:51]
	v_add_f64 v[102:103], v[233:234], v[102:103]
	v_mul_f64 v[233:234], v[156:157], s[18:19]
	v_add_f64 v[100:101], v[106:107], v[100:101]
	v_add_f64 v[30:31], v[30:31], v[34:35]
	;; [unrolled: 1-line block ×3, first 2 shown]
	v_fma_f64 v[235:236], v[152:153], s[16:17], -v[233:234]
	v_fma_f64 v[106:107], v[152:153], s[16:17], v[233:234]
	v_fma_f64 v[233:234], v[122:123], s[28:29], -v[231:232]
	v_add_f64 v[22:23], v[30:31], v[22:23]
	v_add_f64 v[30:31], v[32:33], v[20:21]
	;; [unrolled: 1-line block ×3, first 2 shown]
	v_mul_f64 v[235:236], v[188:189], s[48:49]
	v_add_f64 v[104:105], v[106:107], v[104:105]
	v_fma_f64 v[237:238], v[176:177], s[28:29], v[235:236]
	v_fma_f64 v[106:107], v[176:177], s[28:29], -v[235:236]
	v_add_f64 v[102:103], v[237:238], v[102:103]
	v_mul_f64 v[237:238], v[184:185], s[48:49]
	v_add_f64 v[100:101], v[106:107], v[100:101]
	v_fma_f64 v[239:240], v[174:175], s[28:29], -v[237:238]
	v_add_f64 v[219:220], v[239:240], v[219:220]
	v_mul_f64 v[239:240], v[194:195], s[30:31]
	v_fma_f64 v[241:242], v[180:181], s[26:27], v[239:240]
	v_fma_f64 v[106:107], v[180:181], s[26:27], -v[239:240]
	v_add_f64 v[102:103], v[241:242], v[102:103]
	v_mul_f64 v[241:242], v[186:187], s[30:31]
	v_add_f64 v[100:101], v[106:107], v[100:101]
	v_fma_f64 v[106:107], v[174:175], s[28:29], v[237:238]
	v_fma_f64 v[243:244], v[178:179], s[26:27], -v[241:242]
	v_add_f64 v[104:105], v[106:107], v[104:105]
	v_fma_f64 v[106:107], v[178:179], s[26:27], v[241:242]
	v_add_f64 v[219:220], v[243:244], v[219:220]
	v_mul_f64 v[243:244], v[204:205], s[58:59]
	v_add_f64 v[104:105], v[106:107], v[104:105]
	v_fma_f64 v[245:246], v[192:193], s[6:7], v[243:244]
	v_fma_f64 v[106:107], v[192:193], s[6:7], -v[243:244]
	v_add_f64 v[247:248], v[245:246], v[102:103]
	v_mul_f64 v[102:103], v[202:203], s[58:59]
	v_add_f64 v[106:107], v[106:107], v[100:101]
	v_mul_f64 v[100:101], v[146:147], s[44:45]
	v_fma_f64 v[245:246], v[198:199], s[6:7], -v[102:103]
	v_fma_f64 v[102:103], v[198:199], s[6:7], v[102:103]
	v_add_f64 v[245:246], v[245:246], v[219:220]
	v_add_f64 v[104:105], v[102:103], v[104:105]
	buffer_store_dword v245, off, s[60:63], 0 offset:136 ; 4-byte Folded Spill
	s_nop 0
	buffer_store_dword v246, off, s[60:63], 0 offset:140 ; 4-byte Folded Spill
	buffer_store_dword v247, off, s[60:63], 0 offset:144 ; 4-byte Folded Spill
	;; [unrolled: 1-line block ×4, first 2 shown]
	s_nop 0
	buffer_store_dword v105, off, s[60:63], 0 offset:156 ; 4-byte Folded Spill
	buffer_store_dword v106, off, s[60:63], 0 offset:160 ; 4-byte Folded Spill
	;; [unrolled: 1-line block ×3, first 2 shown]
	v_fma_f64 v[102:103], v[126:127], s[22:23], v[100:101]
	v_mul_f64 v[104:105], v[148:149], s[48:49]
	v_fma_f64 v[100:101], v[126:127], s[22:23], -v[100:101]
	v_add_f64 v[102:103], v[26:27], v[102:103]
	v_fma_f64 v[106:107], v[128:129], s[28:29], v[104:105]
	v_fma_f64 v[104:105], v[128:129], s[28:29], -v[104:105]
	v_add_f64 v[100:101], v[26:27], v[100:101]
	v_add_f64 v[102:103], v[106:107], v[102:103]
	v_mul_f64 v[106:107], v[138:139], s[14:15]
	v_add_f64 v[100:101], v[104:105], v[100:101]
	v_fma_f64 v[219:220], v[134:135], s[6:7], v[106:107]
	v_fma_f64 v[104:105], v[134:135], s[6:7], -v[106:107]
	v_fma_f64 v[106:107], v[122:123], s[28:29], v[231:232]
	v_mul_f64 v[231:232], v[124:125], s[46:47]
	v_mul_f64 v[124:125], v[124:125], s[4:5]
	v_add_f64 v[102:103], v[219:220], v[102:103]
	v_mul_f64 v[219:220], v[158:159], s[56:57]
	v_add_f64 v[100:101], v[104:105], v[100:101]
	v_fma_f64 v[78:79], v[122:123], s[8:9], -v[124:125]
	v_fma_f64 v[221:222], v[142:143], s[16:17], v[219:220]
	v_fma_f64 v[104:105], v[142:143], s[16:17], -v[219:220]
	v_mul_f64 v[219:220], v[138:139], s[42:43]
	v_add_f64 v[102:103], v[221:222], v[102:103]
	v_mul_f64 v[221:222], v[172:173], s[42:43]
	v_add_f64 v[100:101], v[104:105], v[100:101]
	v_fma_f64 v[223:224], v[154:155], s[36:37], v[221:222]
	v_fma_f64 v[104:105], v[154:155], s[36:37], -v[221:222]
	v_mul_f64 v[221:222], v[158:159], s[44:45]
	v_add_f64 v[102:103], v[223:224], v[102:103]
	v_mul_f64 v[223:224], v[188:189], s[24:25]
	v_add_f64 v[100:101], v[104:105], v[100:101]
	;; [unrolled: 6-line block ×4, first 2 shown]
	v_fma_f64 v[229:230], v[120:121], s[22:23], -v[227:228]
	v_fma_f64 v[104:105], v[120:121], s[22:23], v[227:228]
	v_mul_f64 v[227:228], v[194:195], s[24:25]
	v_add_f64 v[229:230], v[24:25], v[229:230]
	v_add_f64 v[104:105], v[24:25], v[104:105]
	;; [unrolled: 1-line block ×3, first 2 shown]
	v_mul_f64 v[233:234], v[132:133], s[14:15]
	v_add_f64 v[104:105], v[106:107], v[104:105]
	v_fma_f64 v[235:236], v[130:131], s[6:7], -v[233:234]
	v_fma_f64 v[106:107], v[130:131], s[6:7], v[233:234]
	v_fma_f64 v[233:234], v[122:123], s[26:27], -v[231:232]
	v_add_f64 v[229:230], v[235:236], v[229:230]
	v_mul_f64 v[235:236], v[150:151], s[56:57]
	v_add_f64 v[104:105], v[106:107], v[104:105]
	v_fma_f64 v[237:238], v[140:141], s[16:17], -v[235:236]
	v_fma_f64 v[106:107], v[140:141], s[16:17], v[235:236]
	v_add_f64 v[229:230], v[237:238], v[229:230]
	v_mul_f64 v[237:238], v[156:157], s[42:43]
	v_add_f64 v[104:105], v[106:107], v[104:105]
	v_fma_f64 v[239:240], v[152:153], s[36:37], -v[237:238]
	v_fma_f64 v[106:107], v[152:153], s[36:37], v[237:238]
	;; [unrolled: 5-line block ×4, first 2 shown]
	v_add_f64 v[229:230], v[243:244], v[229:230]
	v_mul_f64 v[243:244], v[204:205], s[30:31]
	v_add_f64 v[104:105], v[106:107], v[104:105]
	v_fma_f64 v[245:246], v[192:193], s[26:27], v[243:244]
	v_fma_f64 v[106:107], v[192:193], s[26:27], -v[243:244]
	v_add_f64 v[247:248], v[245:246], v[102:103]
	v_mul_f64 v[102:103], v[202:203], s[30:31]
	v_add_f64 v[106:107], v[106:107], v[100:101]
	v_fma_f64 v[245:246], v[198:199], s[26:27], -v[102:103]
	v_fma_f64 v[102:103], v[198:199], s[26:27], v[102:103]
	v_add_f64 v[245:246], v[245:246], v[229:230]
	v_add_f64 v[104:105], v[102:103], v[104:105]
	buffer_store_dword v245, off, s[60:63], 0 offset:208 ; 4-byte Folded Spill
	s_nop 0
	buffer_store_dword v246, off, s[60:63], 0 offset:212 ; 4-byte Folded Spill
	buffer_store_dword v247, off, s[60:63], 0 offset:216 ; 4-byte Folded Spill
	;; [unrolled: 1-line block ×4, first 2 shown]
	s_nop 0
	buffer_store_dword v105, off, s[60:63], 0 offset:228 ; 4-byte Folded Spill
	buffer_store_dword v106, off, s[60:63], 0 offset:232 ; 4-byte Folded Spill
	;; [unrolled: 1-line block ×3, first 2 shown]
	v_mul_f64 v[104:105], v[146:147], s[18:19]
	v_mul_f64 v[106:107], v[148:149], s[46:47]
	;; [unrolled: 1-line block ×5, first 2 shown]
	v_fma_f64 v[100:101], v[126:127], s[16:17], v[104:105]
	v_fma_f64 v[102:103], v[128:129], s[26:27], v[106:107]
	v_fma_f64 v[104:105], v[126:127], s[16:17], -v[104:105]
	v_fma_f64 v[106:107], v[128:129], s[26:27], -v[106:107]
	v_add_f64 v[100:101], v[26:27], v[100:101]
	v_add_f64 v[104:105], v[26:27], v[104:105]
	;; [unrolled: 1-line block ×3, first 2 shown]
	v_fma_f64 v[102:103], v[134:135], s[36:37], v[219:220]
	v_add_f64 v[104:105], v[106:107], v[104:105]
	v_fma_f64 v[106:107], v[134:135], s[36:37], -v[219:220]
	v_fma_f64 v[219:220], v[122:123], s[26:27], v[231:232]
	v_add_f64 v[100:101], v[102:103], v[100:101]
	v_fma_f64 v[102:103], v[142:143], s[22:23], v[221:222]
	v_add_f64 v[104:105], v[106:107], v[104:105]
	v_fma_f64 v[106:107], v[142:143], s[22:23], -v[221:222]
	v_fma_f64 v[221:222], v[198:199], s[28:29], v[247:248]
	v_add_f64 v[100:101], v[102:103], v[100:101]
	v_fma_f64 v[102:103], v[154:155], s[6:7], v[223:224]
	v_add_f64 v[104:105], v[106:107], v[104:105]
	v_fma_f64 v[106:107], v[154:155], s[6:7], -v[223:224]
	v_add_f64 v[100:101], v[102:103], v[100:101]
	v_fma_f64 v[102:103], v[176:177], s[8:9], v[225:226]
	v_add_f64 v[104:105], v[106:107], v[104:105]
	v_fma_f64 v[106:107], v[176:177], s[8:9], -v[225:226]
	;; [unrolled: 4-line block ×3, first 2 shown]
	v_add_f64 v[100:101], v[102:103], v[100:101]
	v_fma_f64 v[102:103], v[120:121], s[16:17], -v[229:230]
	v_add_f64 v[104:105], v[106:107], v[104:105]
	v_fma_f64 v[106:107], v[120:121], s[16:17], v[229:230]
	v_add_f64 v[102:103], v[24:25], v[102:103]
	v_add_f64 v[106:107], v[24:25], v[106:107]
	;; [unrolled: 1-line block ×3, first 2 shown]
	v_mul_f64 v[233:234], v[132:133], s[42:43]
	v_add_f64 v[106:107], v[219:220], v[106:107]
	v_fma_f64 v[235:236], v[130:131], s[36:37], -v[233:234]
	v_fma_f64 v[219:220], v[130:131], s[36:37], v[233:234]
	v_add_f64 v[102:103], v[235:236], v[102:103]
	v_mul_f64 v[235:236], v[150:151], s[44:45]
	v_add_f64 v[106:107], v[219:220], v[106:107]
	v_fma_f64 v[237:238], v[140:141], s[22:23], -v[235:236]
	v_fma_f64 v[219:220], v[140:141], s[22:23], v[235:236]
	v_add_f64 v[102:103], v[237:238], v[102:103]
	;; [unrolled: 5-line block ×4, first 2 shown]
	v_mul_f64 v[241:242], v[186:187], s[24:25]
	v_add_f64 v[106:107], v[219:220], v[106:107]
	v_fma_f64 v[219:220], v[178:179], s[20:21], v[241:242]
	v_fma_f64 v[243:244], v[178:179], s[20:21], -v[241:242]
	v_add_f64 v[219:220], v[219:220], v[106:107]
	v_fma_f64 v[106:107], v[192:193], s[28:29], -v[245:246]
	v_add_f64 v[243:244], v[243:244], v[102:103]
	v_fma_f64 v[102:103], v[192:193], s[28:29], v[245:246]
	v_add_f64 v[106:107], v[106:107], v[104:105]
	v_add_f64 v[104:105], v[221:222], v[219:220]
	v_mul_f64 v[219:220], v[138:139], s[54:55]
	v_add_f64 v[102:103], v[102:103], v[100:101]
	v_fma_f64 v[100:101], v[198:199], s[28:29], -v[247:248]
	v_add_f64 v[94:95], v[94:95], -v[219:220]
	v_mul_f64 v[219:220], v[146:147], s[30:31]
	v_add_f64 v[100:101], v[100:101], v[243:244]
	v_add_f64 v[90:91], v[90:91], -v[219:220]
	v_mul_f64 v[219:220], v[148:149], s[40:41]
	v_add_f64 v[90:91], v[26:27], v[90:91]
	v_add_f64 v[210:211], v[210:211], -v[219:220]
	v_mov_b32_e32 v219, v115
	v_add_f64 v[90:91], v[210:211], v[90:91]
	v_mul_f64 v[210:211], v[158:159], s[34:35]
	v_add_f64 v[90:91], v[94:95], v[90:91]
	v_add_f64 v[92:93], v[92:93], -v[210:211]
	v_mul_f64 v[94:95], v[172:173], s[24:25]
	v_add_f64 v[90:91], v[92:93], v[90:91]
	v_add_f64 v[94:95], v[212:213], -v[94:95]
	;; [unrolled: 3-line block ×3, first 2 shown]
	v_mul_f64 v[94:95], v[194:195], s[42:43]
	v_mul_f64 v[96:97], v[122:123], s[22:23]
	v_add_f64 v[90:91], v[92:93], v[90:91]
	v_add_f64 v[94:95], v[98:99], -v[94:95]
	v_add_f64 v[96:97], v[96:97], v[110:111]
	v_mul_f64 v[92:93], v[204:205], s[18:19]
	v_add_f64 v[90:91], v[94:95], v[90:91]
	v_mul_f64 v[94:95], v[130:131], s[8:9]
	v_add_f64 v[92:93], v[214:215], -v[92:93]
	v_add_f64 v[84:85], v[94:95], v[84:85]
	v_mul_f64 v[94:95], v[120:121], s[26:27]
	v_add_f64 v[110:111], v[92:93], v[90:91]
	buffer_load_dword v90, off, s[60:63], 0 offset:128 ; 4-byte Folded Reload
	buffer_load_dword v91, off, s[60:63], 0 offset:132 ; 4-byte Folded Reload
	;; [unrolled: 1-line block ×4, first 2 shown]
	v_add_f64 v[94:95], v[94:95], v[108:109]
	v_add_f64 v[94:95], v[24:25], v[94:95]
	;; [unrolled: 1-line block ×3, first 2 shown]
	v_mul_f64 v[96:97], v[140:141], s[28:29]
	v_add_f64 v[84:85], v[84:85], v[94:95]
	v_add_f64 v[96:97], v[96:97], v[200:201]
	v_mul_f64 v[94:95], v[152:153], s[20:21]
	v_add_f64 v[84:85], v[96:97], v[84:85]
	v_add_f64 v[86:87], v[94:95], v[86:87]
	;; [unrolled: 3-line block ×5, first 2 shown]
	v_mul_f64 v[86:87], v[146:147], s[14:15]
	buffer_load_dword v94, off, s[60:63], 0 offset:120 ; 4-byte Folded Reload
	buffer_load_dword v95, off, s[60:63], 0 offset:124 ; 4-byte Folded Reload
	v_add_f64 v[108:109], v[88:89], v[84:85]
	v_add_f64 v[86:87], v[254:255], -v[86:87]
	v_mul_f64 v[88:89], v[148:149], s[24:25]
	v_mul_f64 v[84:85], v[138:139], s[46:47]
	v_add_f64 v[86:87], v[26:27], v[86:87]
	v_add_f64 v[88:89], v[144:145], -v[88:89]
	v_add_f64 v[84:85], v[162:163], -v[84:85]
	v_add_f64 v[86:87], v[88:89], v[86:87]
	v_mul_f64 v[88:89], v[158:159], s[50:51]
	v_add_f64 v[84:85], v[84:85], v[86:87]
	v_add_f64 v[88:89], v[166:167], -v[88:89]
	v_mul_f64 v[86:87], v[172:173], s[34:35]
	v_add_f64 v[84:85], v[88:89], v[84:85]
	v_add_f64 v[86:87], v[170:171], -v[86:87]
	;; [unrolled: 3-line block ×4, first 2 shown]
	v_mul_f64 v[88:89], v[204:205], s[54:55]
	v_add_f64 v[84:85], v[86:87], v[84:85]
	v_mul_f64 v[86:87], v[130:131], s[26:27]
	v_add_f64 v[88:89], v[196:197], -v[88:89]
	s_waitcnt vmcnt(4)
	v_add_f64 v[86:87], v[86:87], v[90:91]
	v_mul_f64 v[90:91], v[120:121], s[6:7]
	s_waitcnt vmcnt(2)
	v_add_f64 v[90:91], v[90:91], v[92:93]
	v_mul_f64 v[92:93], v[122:123], s[20:21]
	v_add_f64 v[90:91], v[24:25], v[90:91]
	s_waitcnt vmcnt(0)
	v_add_f64 v[92:93], v[92:93], v[94:95]
	buffer_load_dword v94, off, s[60:63], 0 offset:64 ; 4-byte Folded Reload
	buffer_load_dword v95, off, s[60:63], 0 offset:68 ; 4-byte Folded Reload
	;; [unrolled: 1-line block ×6, first 2 shown]
	v_add_f64 v[90:91], v[92:93], v[90:91]
	v_mul_f64 v[92:93], v[140:141], s[36:37]
	v_add_f64 v[86:87], v[86:87], v[90:91]
	v_add_f64 v[92:93], v[92:93], v[252:253]
	v_mul_f64 v[90:91], v[152:153], s[28:29]
	v_add_f64 v[86:87], v[92:93], v[86:87]
	v_add_f64 v[90:91], v[90:91], v[136:137]
	v_mul_f64 v[92:93], v[174:175], s[22:23]
	buffer_load_dword v136, off, s[60:63], 0 offset:16 ; 4-byte Folded Reload
	buffer_load_dword v137, off, s[60:63], 0 offset:20 ; 4-byte Folded Reload
	;; [unrolled: 1-line block ×4, first 2 shown]
	v_add_f64 v[86:87], v[90:91], v[86:87]
	v_add_f64 v[92:93], v[92:93], v[160:161]
	v_mul_f64 v[90:91], v[178:179], s[16:17]
	buffer_load_dword v160, off, s[60:63], 0 offset:24 ; 4-byte Folded Reload
	buffer_load_dword v161, off, s[60:63], 0 offset:28 ; 4-byte Folded Reload
	;; [unrolled: 1-line block ×4, first 2 shown]
	v_add_f64 v[86:87], v[92:93], v[86:87]
	v_add_f64 v[90:91], v[90:91], v[164:165]
	v_mul_f64 v[92:93], v[198:199], s[8:9]
	buffer_load_dword v164, off, s[60:63], 0 ; 4-byte Folded Reload
	buffer_load_dword v165, off, s[60:63], 0 offset:4 ; 4-byte Folded Reload
	buffer_load_dword v166, off, s[60:63], 0 offset:40 ; 4-byte Folded Reload
	;; [unrolled: 1-line block ×3, first 2 shown]
	v_add_f64 v[90:91], v[90:91], v[86:87]
	v_add_f64 v[92:93], v[92:93], v[168:169]
	buffer_load_dword v168, off, s[60:63], 0 offset:8 ; 4-byte Folded Reload
	buffer_load_dword v169, off, s[60:63], 0 offset:12 ; 4-byte Folded Reload
	;; [unrolled: 1-line block ×8, first 2 shown]
	v_add_f64 v[86:87], v[88:89], v[84:85]
	v_mul_f64 v[88:89], v[204:205], s[44:45]
	buffer_load_dword v196, off, s[60:63], 0 offset:72 ; 4-byte Folded Reload
	buffer_load_dword v197, off, s[60:63], 0 offset:76 ; 4-byte Folded Reload
	v_add_f64 v[84:85], v[92:93], v[90:91]
	v_mul_f64 v[90:91], v[148:149], s[18:19]
	v_mul_f64 v[92:93], v[146:147], s[34:35]
	buffer_load_dword v200, off, s[60:63], 0 offset:312 ; 4-byte Folded Reload
	buffer_load_dword v201, off, s[60:63], 0 offset:316 ; 4-byte Folded Reload
	;; [unrolled: 1-line block ×6, first 2 shown]
	v_add_f64 v[88:89], v[250:251], -v[88:89]
	s_waitcnt vmcnt(32)
	v_add_f64 v[90:91], v[94:95], -v[90:91]
	v_mul_f64 v[94:95], v[120:121], s[28:29]
	s_waitcnt vmcnt(30)
	v_add_f64 v[92:93], v[96:97], -v[92:93]
	v_mul_f64 v[96:97], v[122:123], s[16:17]
	s_waitcnt vmcnt(28)
	v_add_f64 v[94:95], v[94:95], v[98:99]
	v_mul_f64 v[98:99], v[138:139], s[52:53]
	v_add_f64 v[92:93], v[26:27], v[92:93]
	v_add_f64 v[94:95], v[24:25], v[94:95]
	;; [unrolled: 1-line block ×3, first 2 shown]
	v_mul_f64 v[92:93], v[140:141], s[26:27]
	s_waitcnt vmcnt(26)
	v_add_f64 v[96:97], v[96:97], v[136:137]
	v_mul_f64 v[136:137], v[130:131], s[20:21]
	s_waitcnt vmcnt(24)
	v_add_f64 v[98:99], v[144:145], -v[98:99]
	v_mul_f64 v[144:145], v[158:159], s[46:47]
	v_add_f64 v[94:95], v[96:97], v[94:95]
	s_waitcnt vmcnt(22)
	v_add_f64 v[136:137], v[136:137], v[160:161]
	v_mul_f64 v[96:97], v[172:173], s[54:55]
	s_waitcnt vmcnt(20)
	v_add_f64 v[144:145], v[162:163], -v[144:145]
	v_add_f64 v[90:91], v[98:99], v[90:91]
	v_mul_f64 v[160:161], v[120:121], s[8:9]
	v_mul_f64 v[162:163], v[146:147], s[4:5]
	;; [unrolled: 1-line block ×4, first 2 shown]
	v_add_f64 v[94:95], v[136:137], v[94:95]
	s_waitcnt vmcnt(18)
	v_add_f64 v[92:93], v[92:93], v[164:165]
	v_mul_f64 v[136:137], v[188:189], s[42:43]
	s_waitcnt vmcnt(16)
	v_add_f64 v[96:97], v[166:167], -v[96:97]
	v_add_f64 v[90:91], v[144:145], v[90:91]
	v_mul_f64 v[166:167], v[148:149], s[14:15]
	v_mul_f64 v[164:165], v[122:123], s[6:7]
	;; [unrolled: 1-line block ×4, first 2 shown]
	v_add_f64 v[92:93], v[92:93], v[94:95]
	v_mul_f64 v[94:95], v[194:195], s[14:15]
	s_waitcnt vmcnt(12)
	v_add_f64 v[136:137], v[170:171], -v[136:137]
	v_add_f64 v[90:91], v[96:97], v[90:91]
	v_mul_f64 v[96:97], v[178:179], s[6:7]
	v_add_f64 v[98:99], v[98:99], v[168:169]
	v_mul_f64 v[170:171], v[138:139], s[18:19]
	v_mul_f64 v[168:169], v[130:131], s[16:17]
	s_waitcnt vmcnt(10)
	v_add_f64 v[144:145], v[144:145], v[182:183]
	s_waitcnt vmcnt(8)
	v_add_f64 v[94:95], v[190:191], -v[94:95]
	s_waitcnt vmcnt(4)
	v_add_f64 v[162:163], v[200:201], -v[162:163]
	v_add_f64 v[90:91], v[136:137], v[90:91]
	v_mul_f64 v[136:137], v[198:199], s[22:23]
	s_waitcnt vmcnt(0)
	v_add_f64 v[166:167], v[208:209], -v[166:167]
	v_mul_f64 v[200:201], v[188:189], s[46:47]
	v_add_f64 v[96:97], v[96:97], v[196:197]
	v_mul_f64 v[196:197], v[172:173], s[40:41]
	v_add_f64 v[92:93], v[98:99], v[92:93]
	v_add_f64 v[162:163], v[26:27], v[162:163]
	;; [unrolled: 1-line block ×3, first 2 shown]
	v_mul_f64 v[94:95], v[204:205], s[50:51]
	v_add_f64 v[136:137], v[136:137], v[206:207]
	v_mul_f64 v[206:207], v[194:195], s[48:49]
	v_mul_f64 v[98:99], v[158:159], s[24:25]
	;; [unrolled: 1-line block ×4, first 2 shown]
	v_add_f64 v[162:163], v[166:167], v[162:163]
	v_add_f64 v[90:91], v[88:89], v[90:91]
	buffer_load_dword v88, off, s[60:63], 0 offset:320 ; 4-byte Folded Reload
	buffer_load_dword v89, off, s[60:63], 0 offset:324 ; 4-byte Folded Reload
	v_mul_f64 v[190:191], v[152:153], s[22:23]
	v_add_f64 v[92:93], v[144:145], v[92:93]
	v_mul_f64 v[144:145], v[174:175], s[26:27]
	v_fma_f64 v[118:119], v[126:127], s[36:37], -v[146:147]
	v_fma_f64 v[120:121], v[128:129], s[8:9], -v[148:149]
	v_mul_f64 v[208:209], v[198:199], s[36:37]
	v_add_f64 v[92:93], v[96:97], v[92:93]
	v_mul_f64 v[96:97], v[178:179], s[28:29]
	s_waitcnt vmcnt(0)
	v_add_f64 v[88:89], v[88:89], -v[94:95]
	buffer_load_dword v94, off, s[60:63], 0 offset:256 ; 4-byte Folded Reload
	buffer_load_dword v95, off, s[60:63], 0 offset:260 ; 4-byte Folded Reload
	s_waitcnt vmcnt(0)
	v_add_f64 v[94:95], v[160:161], v[94:95]
	buffer_load_dword v160, off, s[60:63], 0 offset:304 ; 4-byte Folded Reload
	buffer_load_dword v161, off, s[60:63], 0 offset:308 ; 4-byte Folded Reload
	v_add_f64 v[94:95], v[24:25], v[94:95]
	v_add_f64 v[24:25], v[24:25], v[64:65]
	v_fma_f64 v[64:65], v[134:135], s[28:29], -v[138:139]
	v_add_f64 v[24:25], v[78:79], v[24:25]
	v_add_f64 v[24:25], v[74:75], v[24:25]
	s_waitcnt vmcnt(0)
	v_add_f64 v[160:161], v[160:161], -v[206:207]
	buffer_load_dword v206, off, s[60:63], 0 offset:288 ; 4-byte Folded Reload
	buffer_load_dword v207, off, s[60:63], 0 offset:292 ; 4-byte Folded Reload
	;; [unrolled: 1-line block ×4, first 2 shown]
	s_waitcnt vmcnt(2)
	v_add_f64 v[170:171], v[206:207], -v[170:171]
	s_waitcnt vmcnt(0)
	v_add_f64 v[166:167], v[166:167], -v[200:201]
	buffer_load_dword v200, off, s[60:63], 0 offset:272 ; 4-byte Folded Reload
	buffer_load_dword v201, off, s[60:63], 0 offset:276 ; 4-byte Folded Reload
	v_add_f64 v[162:163], v[170:171], v[162:163]
	s_waitcnt vmcnt(0)
	v_add_f64 v[196:197], v[200:201], -v[196:197]
	buffer_load_dword v200, off, s[60:63], 0 offset:240 ; 4-byte Folded Reload
	buffer_load_dword v201, off, s[60:63], 0 offset:244 ; 4-byte Folded Reload
	s_waitcnt vmcnt(0)
	v_add_f64 v[164:165], v[164:165], v[200:201]
	buffer_load_dword v200, off, s[60:63], 0 offset:264 ; 4-byte Folded Reload
	buffer_load_dword v201, off, s[60:63], 0 offset:268 ; 4-byte Folded Reload
	;; [unrolled: 1-line block ×4, first 2 shown]
	v_add_f64 v[94:95], v[164:165], v[94:95]
	v_fma_f64 v[164:165], v[128:129], s[8:9], v[148:149]
	s_waitcnt vmcnt(2)
	v_add_f64 v[98:99], v[200:201], -v[98:99]
	v_fma_f64 v[200:201], v[126:127], s[36:37], v[146:147]
	s_waitcnt vmcnt(0)
	v_add_f64 v[168:169], v[168:169], v[170:171]
	v_add_f64 v[98:99], v[98:99], v[162:163]
	buffer_load_dword v162, off, s[60:63], 0 offset:168 ; 4-byte Folded Reload
	buffer_load_dword v163, off, s[60:63], 0 offset:172 ; 4-byte Folded Reload
	v_add_f64 v[170:171], v[26:27], v[200:201]
	v_add_f64 v[40:41], v[168:169], v[94:95]
	v_fma_f64 v[94:95], v[134:135], s[28:29], v[138:139]
	v_add_f64 v[26:27], v[26:27], v[118:119]
	v_fma_f64 v[118:119], v[122:123], s[8:9], v[124:125]
	v_add_f64 v[98:99], v[196:197], v[98:99]
	v_add_f64 v[158:159], v[164:165], v[170:171]
	buffer_load_dword v164, off, s[60:63], 0 offset:192 ; 4-byte Folded Reload
	buffer_load_dword v165, off, s[60:63], 0 offset:196 ; 4-byte Folded Reload
	v_add_f64 v[26:27], v[120:121], v[26:27]
	v_add_f64 v[72:73], v[118:119], v[76:77]
	;; [unrolled: 1-line block ×4, first 2 shown]
	buffer_load_dword v158, off, s[60:63], 0 offset:200 ; 4-byte Folded Reload
	buffer_load_dword v159, off, s[60:63], 0 offset:204 ; 4-byte Folded Reload
	v_add_f64 v[26:27], v[64:65], v[26:27]
	v_add_f64 v[60:61], v[80:81], v[72:73]
	s_waitcnt vmcnt(4)
	v_add_f64 v[162:163], v[182:183], v[162:163]
	v_add_f64 v[36:37], v[162:163], v[40:41]
	v_fma_f64 v[40:41], v[142:143], s[6:7], v[42:43]
	s_waitcnt vmcnt(2)
	v_add_f64 v[164:165], v[190:191], v[164:165]
	v_fma_f64 v[42:43], v[142:143], s[6:7], -v[42:43]
	v_add_f64 v[40:41], v[40:41], v[94:95]
	v_add_f64 v[94:95], v[160:161], v[98:99]
	buffer_load_dword v98, off, s[60:63], 0 offset:184 ; 4-byte Folded Reload
	buffer_load_dword v99, off, s[60:63], 0 offset:188 ; 4-byte Folded Reload
	s_waitcnt vmcnt(2)
	v_add_f64 v[144:145], v[144:145], v[158:159]
	v_add_f64 v[36:37], v[164:165], v[36:37]
	;; [unrolled: 1-line block ×4, first 2 shown]
	buffer_load_dword v54, off, s[60:63], 0 offset:176 ; 4-byte Folded Reload
	buffer_load_dword v55, off, s[60:63], 0 offset:180 ; 4-byte Folded Reload
	v_add_f64 v[28:29], v[88:89], v[94:95]
	v_mul_f64 v[94:95], v[186:187], s[44:45]
	v_add_f64 v[36:37], v[144:145], v[36:37]
	v_add_f64 v[26:27], v[38:39], v[26:27]
	v_fma_f64 v[38:39], v[174:175], s[16:17], v[66:67]
	v_mul_f64 v[88:89], v[202:203], s[24:25]
	v_fma_f64 v[50:51], v[178:179], s[22:23], v[94:95]
	v_fma_f64 v[44:45], v[198:199], s[20:21], v[88:89]
	s_waitcnt vmcnt(2)
	v_add_f64 v[96:97], v[96:97], v[98:99]
	v_fma_f64 v[98:99], v[176:177], s[16:17], v[52:53]
	v_fma_f64 v[52:53], v[176:177], s[16:17], -v[52:53]
	s_waitcnt vmcnt(0)
	v_add_f64 v[54:55], v[208:209], v[54:55]
	v_add_f64 v[36:37], v[96:97], v[36:37]
	;; [unrolled: 1-line block ×3, first 2 shown]
	v_mul_f64 v[98:99], v[150:151], s[14:15]
	v_mul_f64 v[96:97], v[156:157], s[30:31]
	v_add_f64 v[26:27], v[52:53], v[26:27]
	v_add_f64 v[40:41], v[70:71], v[40:41]
	v_fma_f64 v[64:65], v[140:141], s[6:7], v[98:99]
	v_fma_f64 v[62:63], v[140:141], s[6:7], -v[98:99]
	v_fma_f64 v[42:43], v[152:153], s[26:27], v[96:97]
	v_fma_f64 v[58:59], v[152:153], s[26:27], -v[96:97]
	v_add_f64 v[26:27], v[48:49], v[26:27]
	v_add_f64 v[56:57], v[64:65], v[60:61]
	;; [unrolled: 1-line block ×6, first 2 shown]
	v_fma_f64 v[38:39], v[178:179], s[22:23], -v[94:95]
	v_add_f64 v[24:25], v[46:47], v[24:25]
	v_fma_f64 v[42:43], v[192:193], s[20:21], -v[68:69]
	v_fma_f64 v[46:47], v[198:199], s[20:21], -v[88:89]
	v_add_f64 v[88:89], v[136:137], v[92:93]
	v_add_f64 v[32:33], v[50:51], v[34:35]
	v_fma_f64 v[34:35], v[192:193], s[20:21], v[68:69]
	v_add_f64 v[38:39], v[38:39], v[24:25]
	v_add_f64 v[24:25], v[22:23], v[18:19]
	;; [unrolled: 1-line block ×5, first 2 shown]
	v_mul_u32_u24_e32 v16, 0x110, v114
	v_add_f64 v[18:19], v[44:45], v[32:33]
	v_add3_u32 v16, 0, v16, v218
	ds_write_b128 v16, v[22:25]
	ds_write_b128 v16, v[18:21] offset:16
	ds_write_b128 v16, v[26:29] offset:32
	;; [unrolled: 1-line block ×6, first 2 shown]
	buffer_load_dword v17, off, s[60:63], 0 offset:224 ; 4-byte Folded Reload
	buffer_load_dword v18, off, s[60:63], 0 offset:228 ; 4-byte Folded Reload
	;; [unrolled: 1-line block ×4, first 2 shown]
	v_add_f64 v[32:33], v[34:35], v[40:41]
	v_add_f64 v[30:31], v[46:47], v[38:39]
	s_waitcnt vmcnt(0)
	ds_write_b128 v16, v[17:20] offset:112
	buffer_load_dword v17, off, s[60:63], 0 offset:152 ; 4-byte Folded Reload
	buffer_load_dword v18, off, s[60:63], 0 offset:156 ; 4-byte Folded Reload
	buffer_load_dword v19, off, s[60:63], 0 offset:160 ; 4-byte Folded Reload
	buffer_load_dword v20, off, s[60:63], 0 offset:164 ; 4-byte Folded Reload
	s_waitcnt vmcnt(0)
	ds_write_b128 v16, v[17:20] offset:128
	buffer_load_dword v17, off, s[60:63], 0 offset:136 ; 4-byte Folded Reload
	buffer_load_dword v18, off, s[60:63], 0 offset:140 ; 4-byte Folded Reload
	buffer_load_dword v19, off, s[60:63], 0 offset:144 ; 4-byte Folded Reload
	buffer_load_dword v20, off, s[60:63], 0 offset:148 ; 4-byte Folded Reload
	;; [unrolled: 6-line block ×3, first 2 shown]
	s_waitcnt vmcnt(0)
	ds_write_b128 v16, v[17:20] offset:160
	ds_write_b128 v16, v[100:103] offset:176
	;; [unrolled: 1-line block ×7, first 2 shown]
.LBB0_14:
	s_or_b64 exec, exec, s[38:39]
	s_waitcnt lgkmcnt(0)
	s_barrier
	ds_read_b128 v[24:27], v216
	ds_read_b128 v[16:19], v217 offset:1088
	ds_read_b128 v[44:47], v217 offset:7616
	;; [unrolled: 1-line block ×11, first 2 shown]
	v_cmp_gt_u32_e32 vcc, 34, v114
	s_and_saveexec_b64 s[4:5], vcc
	s_cbranch_execz .LBB0_16
; %bb.15:
	ds_read_b128 v[12:15], v217 offset:3264
	ds_read_b128 v[8:11], v217 offset:7072
	;; [unrolled: 1-line block ×4, first 2 shown]
.LBB0_16:
	s_or_b64 exec, exec, s[4:5]
	s_movk_i32 s7, 0xf1
	v_add_u16_e32 v66, 0x44, v114
	v_mul_lo_u16_sdwa v64, v114, s7 dst_sel:DWORD dst_unused:UNUSED_PAD src0_sel:BYTE_0 src1_sel:DWORD
	v_mul_lo_u16_sdwa v67, v66, s7 dst_sel:DWORD dst_unused:UNUSED_PAD src0_sel:BYTE_0 src1_sel:DWORD
	v_lshrrev_b16_e32 v104, 12, v64
	v_lshrrev_b16_e32 v106, 12, v67
	v_mul_lo_u16_e32 v64, 17, v104
	v_mul_lo_u16_e32 v67, 17, v106
	v_sub_u16_e32 v105, v114, v64
	v_mov_b32_e32 v65, 3
	v_sub_u16_e32 v107, v66, v67
	v_mul_u32_u24_sdwa v64, v105, v65 dst_sel:DWORD dst_unused:UNUSED_PAD src0_sel:BYTE_0 src1_sel:DWORD
	v_mul_u32_u24_sdwa v66, v107, v65 dst_sel:DWORD dst_unused:UNUSED_PAD src0_sel:BYTE_0 src1_sel:DWORD
	v_lshlrev_b32_e32 v64, 4, v64
	v_lshlrev_b32_e32 v66, 4, v66
	global_load_dwordx4 v[68:71], v64, s[12:13] offset:16
	global_load_dwordx4 v[72:75], v64, s[12:13]
	global_load_dwordx4 v[76:79], v66, s[12:13] offset:32
	global_load_dwordx4 v[80:83], v66, s[12:13] offset:16
	;; [unrolled: 1-line block ×3, first 2 shown]
	global_load_dwordx4 v[88:91], v66, s[12:13]
	v_add_u16_e32 v64, 0x88, v114
	v_mul_lo_u16_sdwa v66, v64, s7 dst_sel:DWORD dst_unused:UNUSED_PAD src0_sel:BYTE_0 src1_sel:DWORD
	v_lshrrev_b16_e32 v115, 12, v66
	v_mul_lo_u16_e32 v66, 17, v115
	v_sub_u16_e32 v128, v64, v66
	v_mul_u32_u24_sdwa v65, v128, v65 dst_sel:DWORD dst_unused:UNUSED_PAD src0_sel:BYTE_0 src1_sel:DWORD
	v_lshlrev_b32_e32 v65, 4, v65
	global_load_dwordx4 v[92:95], v65, s[12:13]
	global_load_dwordx4 v[96:99], v65, s[12:13] offset:16
	global_load_dwordx4 v[100:103], v65, s[12:13] offset:32
	s_movk_i32 s8, 0x440
	v_mov_b32_e32 v67, 4
	v_mad_u32_u24 v104, v104, s8, 0
	v_mad_u32_u24 v106, v106, s8, 0
	v_lshlrev_b32_sdwa v105, v67, v105 dst_sel:DWORD dst_unused:UNUSED_PAD src0_sel:DWORD src1_sel:BYTE_0
	v_lshlrev_b32_sdwa v107, v67, v107 dst_sel:DWORD dst_unused:UNUSED_PAD src0_sel:DWORD src1_sel:BYTE_0
	v_add3_u32 v129, v104, v105, v218
	v_add3_u32 v130, v106, v107, v218
	s_load_dwordx2 s[2:3], s[2:3], 0x0
	s_waitcnt vmcnt(0) lgkmcnt(0)
	s_barrier
	v_add_u32_e32 v65, 0xcc, v114
	s_mov_b32 s6, 0xf0f1
	v_mul_u32_u24_sdwa v66, v65, s6 dst_sel:DWORD dst_unused:UNUSED_PAD src0_sel:WORD_0 src1_sel:DWORD
	v_mul_f64 v[120:121], v[54:55], v[78:79]
	v_mul_f64 v[106:107], v[46:47], v[70:71]
	;; [unrolled: 1-line block ×18, first 2 shown]
	v_fma_f64 v[56:57], v[56:57], v[72:73], v[104:105]
	v_fma_f64 v[58:59], v[58:59], v[72:73], -v[74:75]
	v_fma_f64 v[44:45], v[44:45], v[68:69], v[106:107]
	v_fma_f64 v[46:47], v[46:47], v[68:69], -v[70:71]
	;; [unrolled: 2-line block ×3, first 2 shown]
	v_fma_f64 v[48:49], v[48:49], v[88:89], v[110:111]
	v_fma_f64 v[28:29], v[28:29], v[80:81], v[118:119]
	;; [unrolled: 1-line block ×4, first 2 shown]
	v_fma_f64 v[34:35], v[34:35], v[92:93], -v[94:95]
	v_fma_f64 v[36:37], v[36:37], v[96:97], v[124:125]
	v_fma_f64 v[38:39], v[38:39], v[96:97], -v[98:99]
	v_fma_f64 v[40:41], v[40:41], v[100:101], v[126:127]
	v_fma_f64 v[42:43], v[42:43], v[100:101], -v[102:103]
	v_fma_f64 v[50:51], v[50:51], v[88:89], -v[90:91]
	;; [unrolled: 1-line block ×4, first 2 shown]
	v_add_f64 v[44:45], v[24:25], -v[44:45]
	v_add_f64 v[46:47], v[26:27], -v[46:47]
	;; [unrolled: 1-line block ×12, first 2 shown]
	v_fma_f64 v[54:55], v[24:25], 2.0, -v[44:45]
	v_fma_f64 v[74:75], v[26:27], 2.0, -v[46:47]
	v_fma_f64 v[40:41], v[56:57], 2.0, -v[60:61]
	v_fma_f64 v[42:43], v[58:59], 2.0, -v[62:63]
	v_add_f64 v[24:25], v[44:45], v[62:63]
	v_add_f64 v[26:27], v[46:47], -v[60:61]
	v_fma_f64 v[60:61], v[20:21], 2.0, -v[52:53]
	v_fma_f64 v[62:63], v[22:23], 2.0, -v[72:73]
	;; [unrolled: 1-line block ×8, first 2 shown]
	v_add_f64 v[16:17], v[68:69], v[30:31]
	v_add_f64 v[18:19], v[70:71], -v[28:29]
	v_add_f64 v[20:21], v[52:53], v[38:39]
	v_add_f64 v[28:29], v[54:55], -v[40:41]
	v_add_f64 v[30:31], v[74:75], -v[42:43]
	v_fma_f64 v[32:33], v[44:45], 2.0, -v[24:25]
	v_fma_f64 v[34:35], v[46:47], 2.0, -v[26:27]
	v_add_f64 v[44:45], v[60:61], -v[76:77]
	v_add_f64 v[46:47], v[62:63], -v[78:79]
	;; [unrolled: 1-line block ×5, first 2 shown]
	v_fma_f64 v[48:49], v[52:53], 2.0, -v[20:21]
	v_fma_f64 v[52:53], v[54:55], 2.0, -v[28:29]
	;; [unrolled: 1-line block ×3, first 2 shown]
	ds_write_b128 v129, v[24:27] offset:816
	v_fma_f64 v[24:25], v[60:61], 2.0, -v[44:45]
	v_fma_f64 v[26:27], v[62:63], 2.0, -v[46:47]
	;; [unrolled: 1-line block ×7, first 2 shown]
	ds_write_b128 v129, v[32:35] offset:272
	ds_write_b128 v129, v[28:31] offset:544
	ds_write_b128 v129, v[52:55]
	ds_write_b128 v130, v[56:59]
	ds_write_b128 v130, v[40:43] offset:272
	ds_write_b128 v130, v[36:39] offset:544
	ds_write_b128 v130, v[16:19] offset:816
	v_mad_u32_u24 v16, v115, s8, 0
	v_lshlrev_b32_sdwa v17, v67, v128 dst_sel:DWORD dst_unused:UNUSED_PAD src0_sel:DWORD src1_sel:BYTE_0
	v_add3_u32 v16, v16, v17, v218
	ds_write_b128 v16, v[24:27]
	ds_write_b128 v16, v[48:51] offset:272
	ds_write_b128 v16, v[44:47] offset:544
	;; [unrolled: 1-line block ×3, first 2 shown]
	s_and_saveexec_b64 s[4:5], vcc
	s_cbranch_execz .LBB0_18
; %bb.17:
	v_lshrrev_b32_e32 v16, 20, v66
	v_mul_lo_u16_e32 v16, 17, v16
	v_sub_u16_e32 v34, v65, v16
	v_mul_u32_u24_e32 v16, 3, v34
	v_lshlrev_b32_e32 v28, 4, v16
	global_load_dwordx4 v[16:19], v28, s[12:13] offset:16
	global_load_dwordx4 v[20:23], v28, s[12:13]
	global_load_dwordx4 v[24:27], v28, s[12:13] offset:32
	s_waitcnt vmcnt(2)
	v_mul_f64 v[28:29], v[4:5], v[18:19]
	s_waitcnt vmcnt(1)
	v_mul_f64 v[30:31], v[10:11], v[22:23]
	v_mul_f64 v[22:23], v[8:9], v[22:23]
	s_waitcnt vmcnt(0)
	v_mul_f64 v[32:33], v[0:1], v[26:27]
	v_mul_f64 v[18:19], v[6:7], v[18:19]
	;; [unrolled: 1-line block ×3, first 2 shown]
	v_fma_f64 v[6:7], v[6:7], v[16:17], -v[28:29]
	v_fma_f64 v[8:9], v[8:9], v[20:21], v[30:31]
	v_fma_f64 v[10:11], v[10:11], v[20:21], -v[22:23]
	v_fma_f64 v[2:3], v[2:3], v[24:25], -v[32:33]
	v_fma_f64 v[4:5], v[4:5], v[16:17], v[18:19]
	v_fma_f64 v[0:1], v[0:1], v[24:25], v[26:27]
	v_add_f64 v[16:17], v[14:15], -v[6:7]
	v_add_f64 v[6:7], v[10:11], -v[2:3]
	;; [unrolled: 1-line block ×4, first 2 shown]
	v_fma_f64 v[14:15], v[14:15], 2.0, -v[16:17]
	v_fma_f64 v[4:5], v[10:11], 2.0, -v[6:7]
	;; [unrolled: 1-line block ×4, first 2 shown]
	v_add_f64 v[2:3], v[16:17], -v[0:1]
	v_add_f64 v[0:1], v[18:19], v[6:7]
	v_add_f64 v[6:7], v[14:15], -v[4:5]
	v_add_f64 v[4:5], v[12:13], -v[8:9]
	v_fma_f64 v[10:11], v[16:17], 2.0, -v[2:3]
	v_fma_f64 v[8:9], v[18:19], 2.0, -v[0:1]
	v_mul_lo_u16_sdwa v16, v65, s7 dst_sel:DWORD dst_unused:UNUSED_PAD src0_sel:BYTE_0 src1_sel:DWORD
	v_lshrrev_b16_e32 v16, 12, v16
	v_mad_u32_u24 v16, v16, s8, 0
	v_fma_f64 v[14:15], v[14:15], 2.0, -v[6:7]
	v_lshlrev_b32_e32 v17, 4, v34
	v_fma_f64 v[12:13], v[12:13], 2.0, -v[4:5]
	v_add3_u32 v16, v16, v17, v218
	ds_write_b128 v16, v[8:11] offset:272
	ds_write_b128 v16, v[4:7] offset:544
	ds_write_b128 v16, v[12:15]
	ds_write_b128 v16, v[0:3] offset:816
.LBB0_18:
	s_or_b64 exec, exec, s[4:5]
	v_mov_b32_e32 v115, 0
	s_movk_i32 s4, 0x79
	v_lshlrev_b64 v[8:9], 4, v[114:115]
	v_mul_lo_u16_sdwa v0, v64, s4 dst_sel:DWORD dst_unused:UNUSED_PAD src0_sel:BYTE_0 src1_sel:DWORD
	v_lshrrev_b16_e32 v0, 13, v0
	v_mov_b32_e32 v98, s13
	v_add_co_u32_e32 v10, vcc, s12, v8
	v_mul_lo_u16_e32 v0, 0x44, v0
	v_add_u32_e32 v18, 0x154, v114
	v_addc_co_u32_e32 v11, vcc, v98, v9, vcc
	v_sub_u16_e32 v0, v64, v0
	s_waitcnt lgkmcnt(0)
	s_barrier
	v_lshlrev_b32_sdwa v99, v67, v0 dst_sel:DWORD dst_unused:UNUSED_PAD src0_sel:DWORD src1_sel:BYTE_0
	global_load_dwordx4 v[0:3], v[10:11], off offset:816
	global_load_dwordx4 v[4:7], v99, s[12:13] offset:816
	v_lshrrev_b32_e32 v10, 22, v66
	v_mul_u32_u24_sdwa v20, v18, s6 dst_sel:DWORD dst_unused:UNUSED_PAD src0_sel:WORD_0 src1_sel:DWORD
	v_mul_lo_u16_e32 v10, 0x44, v10
	v_lshrrev_b32_e32 v20, 22, v20
	v_add_u32_e32 v12, 0x110, v114
	v_sub_u16_e32 v10, v65, v10
	v_mul_lo_u16_e32 v20, 0x44, v20
	v_add_u32_e32 v19, 0x198, v114
	v_lshlrev_b32_e32 v100, 4, v10
	v_mul_u32_u24_sdwa v10, v12, s6 dst_sel:DWORD dst_unused:UNUSED_PAD src0_sel:WORD_0 src1_sel:DWORD
	v_sub_u16_e32 v18, v18, v20
	v_lshrrev_b32_e32 v10, 22, v10
	v_lshlrev_b32_e32 v102, 4, v18
	v_mul_u32_u24_sdwa v18, v19, s6 dst_sel:DWORD dst_unused:UNUSED_PAD src0_sel:WORD_0 src1_sel:DWORD
	v_mul_lo_u16_e32 v10, 0x44, v10
	v_lshrrev_b32_e32 v18, 22, v18
	v_sub_u16_e32 v10, v12, v10
	v_mul_lo_u16_e32 v18, 0x44, v18
	v_lshlrev_b32_e32 v101, 4, v10
	global_load_dwordx4 v[10:13], v100, s[12:13] offset:816
	global_load_dwordx4 v[14:17], v101, s[12:13] offset:816
	v_sub_u16_e32 v22, v19, v18
	global_load_dwordx4 v[18:21], v102, s[12:13] offset:816
	v_lshlrev_b32_e32 v103, 4, v22
	global_load_dwordx4 v[22:25], v103, s[12:13] offset:816
	ds_read_b128 v[26:29], v217 offset:7616
	ds_read_b128 v[30:33], v216
	ds_read_b128 v[34:37], v217 offset:1088
	ds_read_b128 v[38:41], v217 offset:8704
	;; [unrolled: 1-line block ×12, first 2 shown]
	s_waitcnt vmcnt(0) lgkmcnt(0)
	s_barrier
	s_movk_i32 s4, 0x1980
	s_mov_b32 s6, 0x37e14327
	s_mov_b32 s14, 0xe976ee23
	;; [unrolled: 1-line block ×18, first 2 shown]
	v_mul_f64 v[82:83], v[28:29], v[2:3]
	v_mul_f64 v[84:85], v[26:27], v[2:3]
	;; [unrolled: 1-line block ×6, first 2 shown]
	v_fma_f64 v[26:27], v[26:27], v[0:1], v[82:83]
	v_fma_f64 v[28:29], v[28:29], v[0:1], -v[84:85]
	v_fma_f64 v[42:43], v[42:43], v[4:5], v[90:91]
	v_fma_f64 v[44:45], v[44:45], v[4:5], -v[6:7]
	;; [unrolled: 2-line block ×3, first 2 shown]
	v_add_f64 v[0:1], v[30:31], -v[26:27]
	v_add_f64 v[2:3], v[32:33], -v[28:29]
	v_mul_f64 v[88:89], v[56:57], v[12:13]
	v_mul_f64 v[12:13], v[54:55], v[12:13]
	;; [unrolled: 1-line block ×8, first 2 shown]
	v_fma_f64 v[54:55], v[54:55], v[10:11], v[88:89]
	v_fma_f64 v[12:13], v[56:57], v[10:11], -v[12:13]
	v_fma_f64 v[56:57], v[58:59], v[14:15], v[92:93]
	v_fma_f64 v[58:59], v[60:61], v[14:15], -v[16:17]
	;; [unrolled: 2-line block ×4, first 2 shown]
	v_add_f64 v[14:15], v[46:47], -v[42:43]
	v_add_f64 v[16:17], v[48:49], -v[44:45]
	;; [unrolled: 1-line block ×12, first 2 shown]
	v_fma_f64 v[30:31], v[30:31], 2.0, -v[0:1]
	v_fma_f64 v[32:33], v[32:33], 2.0, -v[2:3]
	;; [unrolled: 1-line block ×14, first 2 shown]
	ds_write_b128 v217, v[30:33]
	ds_write_b128 v217, v[0:3] offset:1088
	ds_write_b128 v217, v[34:37] offset:2176
	;; [unrolled: 1-line block ×3, first 2 shown]
	v_add3_u32 v0, 0, v99, v218
	ds_write_b128 v0, v[42:45] offset:4352
	ds_write_b128 v0, v[14:17] offset:5440
	v_add3_u32 v0, 0, v100, v218
	ds_write_b128 v0, v[38:41] offset:6528
	ds_write_b128 v0, v[10:13] offset:7616
	;; [unrolled: 3-line block ×5, first 2 shown]
	v_mul_u32_u24_e32 v0, 6, v114
	v_lshlrev_b32_e32 v26, 4, v0
	s_waitcnt lgkmcnt(0)
	s_barrier
	global_load_dwordx4 v[0:3], v26, s[12:13] offset:1920
	global_load_dwordx4 v[4:7], v26, s[12:13] offset:1904
	;; [unrolled: 1-line block ×6, first 2 shown]
	v_add_co_u32_e32 v27, vcc, s12, v26
	v_addc_co_u32_e32 v28, vcc, 0, v98, vcc
	v_add_co_u32_e32 v50, vcc, s4, v27
	v_addc_co_u32_e32 v51, vcc, 0, v28, vcc
	global_load_dwordx4 v[26:29], v[50:51], off offset:1904
	global_load_dwordx4 v[30:33], v[50:51], off offset:1920
	;; [unrolled: 1-line block ×6, first 2 shown]
	ds_read_b128 v[50:53], v216
	ds_read_b128 v[54:57], v217 offset:1088
	ds_read_b128 v[58:61], v217 offset:2176
	;; [unrolled: 1-line block ×13, first 2 shown]
	s_mov_b32 s4, 0x36b3c0b5
	s_mov_b32 s5, 0x3fac98ee
	s_waitcnt vmcnt(0) lgkmcnt(0)
	s_barrier
	v_cmp_ne_u32_e32 vcc, 0, v114
	v_mul_f64 v[118:119], v[84:85], v[12:13]
	v_mul_f64 v[108:109], v[68:69], v[2:3]
	v_mul_f64 v[106:107], v[60:61], v[6:7]
	v_mul_f64 v[6:7], v[58:59], v[6:7]
	v_mul_f64 v[2:3], v[66:67], v[2:3]
	v_mul_f64 v[110:111], v[76:77], v[16:17]
	v_mul_f64 v[16:17], v[74:75], v[16:17]
	v_mul_f64 v[12:13], v[82:83], v[12:13]
	v_mul_f64 v[120:121], v[92:93], v[24:25]
	v_mul_f64 v[24:25], v[90:91], v[24:25]
	v_mul_f64 v[122:123], v[100:101], v[20:21]
	v_mul_f64 v[20:21], v[98:99], v[20:21]
	v_mul_f64 v[124:125], v[64:65], v[28:29]
	v_mul_f64 v[28:29], v[62:63], v[28:29]
	v_mul_f64 v[126:127], v[72:73], v[32:33]
	v_mul_f64 v[32:33], v[70:71], v[32:33]
	v_mul_f64 v[128:129], v[80:81], v[36:37]
	v_fma_f64 v[58:59], v[58:59], v[4:5], v[106:107]
	v_fma_f64 v[4:5], v[60:61], v[4:5], -v[6:7]
	v_fma_f64 v[6:7], v[66:67], v[0:1], v[108:109]
	v_fma_f64 v[0:1], v[68:69], v[0:1], -v[2:3]
	;; [unrolled: 2-line block ×7, first 2 shown]
	v_mul_f64 v[20:21], v[78:79], v[36:37]
	v_mul_f64 v[28:29], v[88:89], v[40:41]
	;; [unrolled: 1-line block ×5, first 2 shown]
	v_fma_f64 v[62:63], v[70:71], v[30:31], v[126:127]
	v_fma_f64 v[30:31], v[72:73], v[30:31], -v[32:33]
	v_fma_f64 v[32:33], v[78:79], v[34:35], v[128:129]
	v_fma_f64 v[34:35], v[80:81], v[34:35], -v[20:21]
	;; [unrolled: 2-line block ×4, first 2 shown]
	v_mul_f64 v[20:21], v[104:105], v[48:49]
	v_mul_f64 v[42:43], v[102:103], v[48:49]
	v_add_f64 v[44:45], v[58:59], v[24:25]
	v_add_f64 v[48:49], v[4:5], v[18:19]
	v_add_f64 v[24:25], v[58:59], -v[24:25]
	v_add_f64 v[4:5], v[4:5], -v[18:19]
	v_add_f64 v[18:19], v[6:7], v[12:13]
	v_add_f64 v[58:59], v[0:1], v[22:23]
	v_add_f64 v[6:7], v[6:7], -v[12:13]
	v_add_f64 v[0:1], v[0:1], -v[22:23]
	;; [unrolled: 4-line block ×4, first 2 shown]
	v_add_f64 v[44:45], v[44:45], -v[12:13]
	v_add_f64 v[48:49], v[48:49], -v[22:23]
	;; [unrolled: 1-line block ×4, first 2 shown]
	v_add_f64 v[68:69], v[2:3], v[6:7]
	v_add_f64 v[70:71], v[10:11], v[0:1]
	v_add_f64 v[72:73], v[2:3], -v[6:7]
	v_add_f64 v[74:75], v[10:11], -v[0:1]
	v_add_f64 v[12:13], v[12:13], v[14:15]
	v_add_f64 v[14:15], v[22:23], v[16:17]
	v_add_f64 v[6:7], v[6:7], -v[24:25]
	v_add_f64 v[22:23], v[0:1], -v[4:5]
	;; [unrolled: 1-line block ×4, first 2 shown]
	v_add_f64 v[24:25], v[68:69], v[24:25]
	v_add_f64 v[4:5], v[70:71], v[4:5]
	;; [unrolled: 1-line block ×4, first 2 shown]
	v_mul_f64 v[44:45], v[44:45], s[6:7]
	v_mul_f64 v[48:49], v[48:49], s[6:7]
	;; [unrolled: 1-line block ×8, first 2 shown]
	v_fma_f64 v[12:13], v[12:13], s[16:17], v[0:1]
	v_fma_f64 v[14:15], v[14:15], s[16:17], v[2:3]
	;; [unrolled: 1-line block ×4, first 2 shown]
	v_fma_f64 v[50:51], v[64:65], s[18:19], -v[50:51]
	v_fma_f64 v[52:53], v[66:67], s[18:19], -v[52:53]
	;; [unrolled: 1-line block ×4, first 2 shown]
	v_fma_f64 v[64:65], v[16:17], s[22:23], v[68:69]
	v_fma_f64 v[66:67], v[10:11], s[22:23], v[70:71]
	v_fma_f64 v[6:7], v[6:7], s[8:9], -v[68:69]
	v_fma_f64 v[22:23], v[22:23], s[8:9], -v[70:71]
	;; [unrolled: 1-line block ×4, first 2 shown]
	v_add_f64 v[68:69], v[18:19], v[12:13]
	v_add_f64 v[18:19], v[50:51], v[12:13]
	;; [unrolled: 1-line block ×4, first 2 shown]
	v_fma_f64 v[52:53], v[4:5], s[24:25], v[66:67]
	v_fma_f64 v[64:65], v[24:25], s[24:25], v[64:65]
	v_fma_f64 v[70:71], v[24:25], s[24:25], v[16:17]
	v_fma_f64 v[66:67], v[4:5], s[24:25], v[10:11]
	v_fma_f64 v[22:23], v[4:5], s[24:25], v[22:23]
	v_fma_f64 v[24:25], v[24:25], s[24:25], v[6:7]
	v_fma_f64 v[72:73], v[102:103], v[46:47], v[20:21]
	v_fma_f64 v[42:43], v[104:105], v[46:47], -v[42:43]
	v_add_f64 v[58:59], v[58:59], v[14:15]
	v_add_f64 v[48:49], v[48:49], v[14:15]
	;; [unrolled: 1-line block ×4, first 2 shown]
	v_add_f64 v[14:15], v[18:19], -v[22:23]
	v_add_f64 v[16:17], v[24:25], v[50:51]
	v_add_f64 v[18:19], v[22:23], v[18:19]
	v_add_f64 v[20:21], v[50:51], -v[24:25]
	v_add_f64 v[22:23], v[44:45], -v[66:67]
	v_add_f64 v[44:45], v[60:61], v[72:73]
	v_add_f64 v[46:47], v[26:27], v[42:43]
	v_add_f64 v[26:27], v[26:27], -v[42:43]
	v_add_f64 v[42:43], v[62:63], v[38:39]
	v_add_f64 v[50:51], v[30:31], v[40:41]
	v_add_f64 v[12:13], v[48:49], -v[70:71]
	v_add_f64 v[24:25], v[70:71], v[48:49]
	v_add_f64 v[48:49], v[60:61], -v[72:73]
	v_add_f64 v[38:39], v[62:63], -v[38:39]
	;; [unrolled: 1-line block ×3, first 2 shown]
	v_add_f64 v[40:41], v[32:33], v[28:29]
	v_add_f64 v[60:61], v[34:35], v[36:37]
	v_add_f64 v[28:29], v[28:29], -v[32:33]
	v_add_f64 v[32:33], v[36:37], -v[34:35]
	v_add_f64 v[34:35], v[42:43], v[44:45]
	v_add_f64 v[36:37], v[50:51], v[46:47]
	v_add_f64 v[62:63], v[42:43], -v[44:45]
	v_add_f64 v[66:67], v[50:51], -v[46:47]
	;; [unrolled: 1-line block ×6, first 2 shown]
	v_add_f64 v[70:71], v[28:29], v[38:39]
	v_add_f64 v[72:73], v[32:33], v[30:31]
	v_add_f64 v[74:75], v[28:29], -v[38:39]
	v_add_f64 v[76:77], v[32:33], -v[30:31]
	v_add_f64 v[34:35], v[40:41], v[34:35]
	v_add_f64 v[36:37], v[60:61], v[36:37]
	v_add_f64 v[38:39], v[38:39], -v[48:49]
	v_add_f64 v[30:31], v[30:31], -v[26:27]
	;; [unrolled: 1-line block ×4, first 2 shown]
	v_add_f64 v[48:49], v[70:71], v[48:49]
	v_add_f64 v[60:61], v[72:73], v[26:27]
	;; [unrolled: 1-line block ×4, first 2 shown]
	v_mul_f64 v[44:45], v[44:45], s[6:7]
	v_mul_f64 v[46:47], v[46:47], s[6:7]
	;; [unrolled: 1-line block ×8, first 2 shown]
	v_fma_f64 v[34:35], v[34:35], s[16:17], v[26:27]
	v_fma_f64 v[36:37], v[36:37], s[16:17], v[28:29]
	;; [unrolled: 1-line block ×4, first 2 shown]
	v_fma_f64 v[54:55], v[62:63], s[18:19], -v[54:55]
	v_fma_f64 v[56:57], v[66:67], s[18:19], -v[56:57]
	;; [unrolled: 1-line block ×4, first 2 shown]
	v_fma_f64 v[62:63], v[40:41], s[22:23], v[70:71]
	v_fma_f64 v[66:67], v[32:33], s[22:23], v[72:73]
	v_fma_f64 v[38:39], v[38:39], s[8:9], -v[70:71]
	v_fma_f64 v[30:31], v[30:31], s[8:9], -v[72:73]
	;; [unrolled: 1-line block ×4, first 2 shown]
	v_add_f64 v[70:71], v[42:43], v[34:35]
	v_add_f64 v[72:73], v[50:51], v[36:37]
	;; [unrolled: 1-line block ×6, first 2 shown]
	v_fma_f64 v[66:67], v[60:61], s[24:25], v[66:67]
	v_fma_f64 v[62:63], v[48:49], s[24:25], v[62:63]
	v_fma_f64 v[76:77], v[60:61], s[24:25], v[32:33]
	v_fma_f64 v[78:79], v[48:49], s[24:25], v[40:41]
	v_fma_f64 v[46:47], v[60:61], s[24:25], v[30:31]
	v_fma_f64 v[48:49], v[48:49], s[24:25], v[38:39]
	v_add_f64 v[6:7], v[58:59], -v[64:65]
	v_add_f64 v[30:31], v[68:69], -v[52:53]
	v_add_f64 v[32:33], v[64:65], v[58:59]
	v_add_f64 v[34:35], v[66:67], v[70:71]
	v_add_f64 v[36:37], v[72:73], -v[62:63]
	v_add_f64 v[38:39], v[76:77], v[56:57]
	v_add_f64 v[40:41], v[74:75], -v[78:79]
	v_add_f64 v[42:43], v[50:51], -v[46:47]
	v_add_f64 v[44:45], v[48:49], v[54:55]
	v_add_f64 v[46:47], v[46:47], v[50:51]
	v_add_f64 v[48:49], v[54:55], -v[48:49]
	v_add_f64 v[50:51], v[56:57], -v[76:77]
	v_add_f64 v[52:53], v[78:79], v[74:75]
	v_add_f64 v[54:55], v[70:71], -v[66:67]
	v_add_f64 v[56:57], v[62:63], v[72:73]
	ds_write_b128 v217, v[0:3]
	ds_write_b128 v217, v[4:7] offset:2176
	ds_write_b128 v217, v[10:13] offset:4352
	;; [unrolled: 1-line block ×13, first 2 shown]
	s_waitcnt lgkmcnt(0)
	s_barrier
	ds_read_b128 v[4:7], v216
	s_add_u32 s6, s12, 0x3a70
	s_addc_u32 s7, s13, 0
	v_sub_u32_e32 v14, v249, v219
                                        ; implicit-def: $vgpr0_vgpr1
                                        ; implicit-def: $vgpr10_vgpr11
                                        ; implicit-def: $vgpr12_vgpr13
	s_and_saveexec_b64 s[4:5], vcc
	s_xor_b64 s[4:5], exec, s[4:5]
	s_cbranch_execz .LBB0_20
; %bb.19:
	v_mov_b32_e32 v1, s7
	v_add_co_u32_e32 v0, vcc, s6, v8
	v_addc_co_u32_e32 v1, vcc, v1, v9, vcc
	global_load_dwordx4 v[15:18], v[0:1], off
	ds_read_b128 v[0:3], v14 offset:15232
	s_waitcnt lgkmcnt(0)
	v_add_f64 v[10:11], v[4:5], -v[0:1]
	v_add_f64 v[12:13], v[6:7], v[2:3]
	v_add_f64 v[2:3], v[6:7], -v[2:3]
	v_add_f64 v[0:1], v[4:5], v[0:1]
	v_mul_f64 v[6:7], v[10:11], 0.5
	v_mul_f64 v[4:5], v[12:13], 0.5
	;; [unrolled: 1-line block ×3, first 2 shown]
	s_waitcnt vmcnt(0)
	v_mul_f64 v[10:11], v[6:7], v[17:18]
	v_fma_f64 v[12:13], v[4:5], v[17:18], v[2:3]
	v_fma_f64 v[2:3], v[4:5], v[17:18], -v[2:3]
	v_fma_f64 v[19:20], v[0:1], 0.5, v[10:11]
	v_fma_f64 v[0:1], v[0:1], 0.5, -v[10:11]
	v_fma_f64 v[12:13], -v[15:16], v[6:7], v[12:13]
	v_fma_f64 v[2:3], -v[15:16], v[6:7], v[2:3]
	v_fma_f64 v[10:11], v[4:5], v[15:16], v[19:20]
	v_fma_f64 v[0:1], -v[4:5], v[15:16], v[0:1]
                                        ; implicit-def: $vgpr4_vgpr5
.LBB0_20:
	s_andn2_saveexec_b64 s[4:5], s[4:5]
	s_cbranch_execz .LBB0_22
; %bb.21:
	s_waitcnt lgkmcnt(0)
	v_add_f64 v[10:11], v[4:5], v[6:7]
	ds_read_b64 v[2:3], v249 offset:7624
	v_add_f64 v[0:1], v[4:5], -v[6:7]
	v_mov_b32_e32 v12, 0
	v_mov_b32_e32 v13, 0
	s_waitcnt lgkmcnt(0)
	v_xor_b32_e32 v3, 0x80000000, v3
	ds_write_b64 v249, v[2:3] offset:7624
	v_mov_b32_e32 v2, v12
	v_mov_b32_e32 v3, v13
.LBB0_22:
	s_or_b64 exec, exec, s[4:5]
	s_waitcnt lgkmcnt(0)
	v_mov_b32_e32 v4, s7
	v_add_co_u32_e32 v19, vcc, s6, v8
	v_addc_co_u32_e32 v20, vcc, v4, v9, vcc
	global_load_dwordx4 v[4:7], v[19:20], off offset:1088
	global_load_dwordx4 v[15:18], v[19:20], off offset:2176
	ds_write2_b64 v216, v[10:11], v[12:13] offset1:1
	ds_write_b128 v14, v[0:3] offset:15232
	ds_read_b128 v[0:3], v216 offset:1088
	ds_read_b128 v[8:11], v14 offset:14144
	s_movk_i32 s4, 0x1000
	v_add_u32_e32 v25, 0x800, v216
	s_waitcnt lgkmcnt(0)
	v_add_f64 v[12:13], v[0:1], -v[8:9]
	v_add_f64 v[21:22], v[2:3], v[10:11]
	v_add_f64 v[2:3], v[2:3], -v[10:11]
	v_add_f64 v[0:1], v[0:1], v[8:9]
	v_mul_f64 v[10:11], v[12:13], 0.5
	v_mul_f64 v[12:13], v[21:22], 0.5
	;; [unrolled: 1-line block ×3, first 2 shown]
	s_waitcnt vmcnt(1)
	v_mul_f64 v[8:9], v[10:11], v[6:7]
	v_fma_f64 v[21:22], v[12:13], v[6:7], v[2:3]
	v_fma_f64 v[6:7], v[12:13], v[6:7], -v[2:3]
	v_fma_f64 v[23:24], v[0:1], 0.5, v[8:9]
	v_fma_f64 v[8:9], v[0:1], 0.5, -v[8:9]
	global_load_dwordx4 v[0:3], v[19:20], off offset:3264
	v_fma_f64 v[21:22], -v[4:5], v[10:11], v[21:22]
	v_fma_f64 v[6:7], -v[4:5], v[10:11], v[6:7]
	v_add_co_u32_e32 v19, vcc, s4, v19
	v_addc_co_u32_e32 v20, vcc, 0, v20, vcc
	v_fma_f64 v[10:11], v[12:13], v[4:5], v[23:24]
	v_fma_f64 v[4:5], -v[12:13], v[4:5], v[8:9]
	ds_write2_b64 v216, v[10:11], v[21:22] offset0:136 offset1:137
	ds_write_b128 v14, v[4:7] offset:14144
	ds_read_b128 v[4:7], v216 offset:2176
	ds_read_b128 v[8:11], v14 offset:13056
	s_waitcnt lgkmcnt(0)
	v_add_f64 v[12:13], v[4:5], -v[8:9]
	v_add_f64 v[21:22], v[6:7], v[10:11]
	v_add_f64 v[6:7], v[6:7], -v[10:11]
	v_add_f64 v[4:5], v[4:5], v[8:9]
	v_mul_f64 v[10:11], v[12:13], 0.5
	v_mul_f64 v[12:13], v[21:22], 0.5
	v_mul_f64 v[6:7], v[6:7], 0.5
	s_waitcnt vmcnt(1)
	v_mul_f64 v[8:9], v[10:11], v[17:18]
	v_fma_f64 v[21:22], v[12:13], v[17:18], v[6:7]
	v_fma_f64 v[17:18], v[12:13], v[17:18], -v[6:7]
	v_fma_f64 v[23:24], v[4:5], 0.5, v[8:9]
	v_fma_f64 v[8:9], v[4:5], 0.5, -v[8:9]
	global_load_dwordx4 v[4:7], v[19:20], off offset:256
	v_fma_f64 v[21:22], -v[15:16], v[10:11], v[21:22]
	v_fma_f64 v[10:11], -v[15:16], v[10:11], v[17:18]
	v_fma_f64 v[17:18], v[12:13], v[15:16], v[23:24]
	v_fma_f64 v[8:9], -v[12:13], v[15:16], v[8:9]
	ds_write2_b64 v25, v[17:18], v[21:22] offset0:16 offset1:17
	ds_write_b128 v14, v[8:11] offset:13056
	ds_read_b128 v[8:11], v216 offset:3264
	ds_read_b128 v[15:18], v14 offset:11968
	s_waitcnt lgkmcnt(0)
	v_add_f64 v[12:13], v[8:9], -v[15:16]
	v_add_f64 v[21:22], v[10:11], v[17:18]
	v_add_f64 v[10:11], v[10:11], -v[17:18]
	v_add_f64 v[8:9], v[8:9], v[15:16]
	v_mul_f64 v[12:13], v[12:13], 0.5
	v_mul_f64 v[17:18], v[21:22], 0.5
	v_mul_f64 v[10:11], v[10:11], 0.5
	s_waitcnt vmcnt(1)
	v_mul_f64 v[15:16], v[12:13], v[2:3]
	v_fma_f64 v[21:22], v[17:18], v[2:3], v[10:11]
	v_fma_f64 v[2:3], v[17:18], v[2:3], -v[10:11]
	v_fma_f64 v[23:24], v[8:9], 0.5, v[15:16]
	v_fma_f64 v[15:16], v[8:9], 0.5, -v[15:16]
	global_load_dwordx4 v[8:11], v[19:20], off offset:1344
	v_fma_f64 v[21:22], -v[0:1], v[12:13], v[21:22]
	v_fma_f64 v[2:3], -v[0:1], v[12:13], v[2:3]
	;; [unrolled: 23-line block ×3, first 2 shown]
	v_add_u32_e32 v21, 0x1000, v216
	v_fma_f64 v[12:13], v[17:18], v[4:5], v[23:24]
	v_fma_f64 v[4:5], -v[17:18], v[4:5], v[15:16]
	ds_write2_b64 v21, v[12:13], v[19:20] offset0:32 offset1:33
	ds_write_b128 v14, v[4:7] offset:10880
	ds_read_b128 v[4:7], v216 offset:5440
	ds_read_b128 v[15:18], v14 offset:9792
	s_waitcnt lgkmcnt(0)
	v_add_f64 v[12:13], v[4:5], -v[15:16]
	v_add_f64 v[19:20], v[6:7], v[17:18]
	v_add_f64 v[6:7], v[6:7], -v[17:18]
	v_add_f64 v[4:5], v[4:5], v[15:16]
	v_mul_f64 v[12:13], v[12:13], 0.5
	v_mul_f64 v[17:18], v[19:20], 0.5
	;; [unrolled: 1-line block ×3, first 2 shown]
	s_waitcnt vmcnt(1)
	v_mul_f64 v[15:16], v[12:13], v[10:11]
	v_fma_f64 v[19:20], v[17:18], v[10:11], v[6:7]
	v_fma_f64 v[6:7], v[17:18], v[10:11], -v[6:7]
	v_fma_f64 v[10:11], v[4:5], 0.5, v[15:16]
	v_fma_f64 v[4:5], v[4:5], 0.5, -v[15:16]
	v_fma_f64 v[15:16], -v[8:9], v[12:13], v[19:20]
	v_fma_f64 v[6:7], -v[8:9], v[12:13], v[6:7]
	v_fma_f64 v[10:11], v[17:18], v[8:9], v[10:11]
	v_fma_f64 v[4:5], -v[17:18], v[8:9], v[4:5]
	ds_write2_b64 v21, v[10:11], v[15:16] offset0:168 offset1:169
	ds_write_b128 v14, v[4:7] offset:9792
	ds_read_b128 v[4:7], v216 offset:6528
	ds_read_b128 v[8:11], v14 offset:8704
	s_waitcnt lgkmcnt(0)
	v_add_f64 v[12:13], v[4:5], -v[8:9]
	v_add_f64 v[15:16], v[6:7], v[10:11]
	v_add_f64 v[6:7], v[6:7], -v[10:11]
	v_add_f64 v[4:5], v[4:5], v[8:9]
	v_mul_f64 v[10:11], v[12:13], 0.5
	v_mul_f64 v[12:13], v[15:16], 0.5
	;; [unrolled: 1-line block ×3, first 2 shown]
	s_waitcnt vmcnt(0)
	v_mul_f64 v[8:9], v[10:11], v[2:3]
	v_fma_f64 v[15:16], v[12:13], v[2:3], v[6:7]
	v_fma_f64 v[2:3], v[12:13], v[2:3], -v[6:7]
	v_fma_f64 v[6:7], v[4:5], 0.5, v[8:9]
	v_fma_f64 v[4:5], v[4:5], 0.5, -v[8:9]
	v_fma_f64 v[8:9], -v[0:1], v[10:11], v[15:16]
	v_fma_f64 v[2:3], -v[0:1], v[10:11], v[2:3]
	v_fma_f64 v[6:7], v[12:13], v[0:1], v[6:7]
	v_fma_f64 v[0:1], -v[12:13], v[0:1], v[4:5]
	v_add_u32_e32 v4, 0x1800, v216
	ds_write2_b64 v4, v[6:7], v[8:9] offset0:48 offset1:49
	ds_write_b128 v14, v[0:3] offset:8704
	s_waitcnt lgkmcnt(0)
	s_barrier
	s_and_saveexec_b64 s[4:5], s[0:1]
	s_cbranch_execz .LBB0_25
; %bb.23:
	v_mul_lo_u32 v0, s3, v116
	v_mul_lo_u32 v3, s2, v117
	v_mad_u64_u32 v[1:2], s[0:1], s2, v116, 0
	v_mov_b32_e32 v7, s11
	v_mov_b32_e32 v115, 0
	v_add3_u32 v2, v2, v3, v0
	v_lshlrev_b64 v[1:2], 4, v[1:2]
	v_lshl_add_u32 v0, v114, 4, v249
	v_add_co_u32_e32 v1, vcc, s10, v1
	v_addc_co_u32_e32 v9, vcc, v7, v2, vcc
	v_lshlrev_b64 v[7:8], 4, v[112:113]
	ds_read_b128 v[3:6], v0
	v_add_co_u32_e32 v2, vcc, v1, v7
	v_addc_co_u32_e32 v1, vcc, v9, v8, vcc
	v_lshlrev_b64 v[7:8], 4, v[114:115]
	s_movk_i32 s0, 0x43
	v_add_co_u32_e32 v11, vcc, v2, v7
	v_addc_co_u32_e32 v12, vcc, v1, v8, vcc
	ds_read_b128 v[7:10], v0 offset:1088
	s_waitcnt lgkmcnt(1)
	global_store_dwordx4 v[11:12], v[3:6], off
	s_nop 0
	v_add_u32_e32 v3, 0x44, v114
	v_mov_b32_e32 v4, v115
	v_lshlrev_b64 v[3:4], 4, v[3:4]
	v_add_co_u32_e32 v3, vcc, v2, v3
	v_addc_co_u32_e32 v4, vcc, v1, v4, vcc
	s_waitcnt lgkmcnt(0)
	global_store_dwordx4 v[3:4], v[7:10], off
	ds_read_b128 v[3:6], v0 offset:2176
	v_add_u32_e32 v7, 0x88, v114
	v_mov_b32_e32 v8, v115
	v_lshlrev_b64 v[7:8], 4, v[7:8]
	v_add_co_u32_e32 v11, vcc, v2, v7
	v_addc_co_u32_e32 v12, vcc, v1, v8, vcc
	ds_read_b128 v[7:10], v0 offset:3264
	s_waitcnt lgkmcnt(1)
	global_store_dwordx4 v[11:12], v[3:6], off
	s_nop 0
	v_add_u32_e32 v3, 0xcc, v114
	v_mov_b32_e32 v4, v115
	v_lshlrev_b64 v[3:4], 4, v[3:4]
	v_add_co_u32_e32 v3, vcc, v2, v3
	v_addc_co_u32_e32 v4, vcc, v1, v4, vcc
	s_waitcnt lgkmcnt(0)
	global_store_dwordx4 v[3:4], v[7:10], off
	ds_read_b128 v[3:6], v0 offset:4352
	v_add_u32_e32 v7, 0x110, v114
	v_mov_b32_e32 v8, v115
	v_lshlrev_b64 v[7:8], 4, v[7:8]
	v_add_co_u32_e32 v11, vcc, v2, v7
	v_addc_co_u32_e32 v12, vcc, v1, v8, vcc
	ds_read_b128 v[7:10], v0 offset:5440
	s_waitcnt lgkmcnt(1)
	global_store_dwordx4 v[11:12], v[3:6], off
	s_nop 0
	v_add_u32_e32 v3, 0x154, v114
	v_mov_b32_e32 v4, v115
	v_lshlrev_b64 v[3:4], 4, v[3:4]
	v_add_co_u32_e32 v3, vcc, v2, v3
	v_addc_co_u32_e32 v4, vcc, v1, v4, vcc
	s_waitcnt lgkmcnt(0)
	global_store_dwordx4 v[3:4], v[7:10], off
	ds_read_b128 v[3:6], v0 offset:6528
	v_add_u32_e32 v7, 0x198, v114
	v_mov_b32_e32 v8, v115
	v_lshlrev_b64 v[7:8], 4, v[7:8]
	v_add_co_u32_e32 v11, vcc, v2, v7
	v_addc_co_u32_e32 v12, vcc, v1, v8, vcc
	ds_read_b128 v[7:10], v0 offset:7616
	s_waitcnt lgkmcnt(1)
	global_store_dwordx4 v[11:12], v[3:6], off
	s_nop 0
	v_add_u32_e32 v3, 0x1dc, v114
	v_mov_b32_e32 v4, v115
	v_lshlrev_b64 v[3:4], 4, v[3:4]
	v_add_co_u32_e32 v3, vcc, v2, v3
	v_addc_co_u32_e32 v4, vcc, v1, v4, vcc
	s_waitcnt lgkmcnt(0)
	global_store_dwordx4 v[3:4], v[7:10], off
	ds_read_b128 v[3:6], v0 offset:8704
	v_add_u32_e32 v7, 0x220, v114
	v_mov_b32_e32 v8, v115
	v_lshlrev_b64 v[7:8], 4, v[7:8]
	v_add_co_u32_e32 v11, vcc, v2, v7
	v_addc_co_u32_e32 v12, vcc, v1, v8, vcc
	ds_read_b128 v[7:10], v0 offset:9792
	s_waitcnt lgkmcnt(1)
	global_store_dwordx4 v[11:12], v[3:6], off
	s_nop 0
	v_add_u32_e32 v3, 0x264, v114
	v_mov_b32_e32 v4, v115
	v_lshlrev_b64 v[3:4], 4, v[3:4]
	v_add_co_u32_e32 v3, vcc, v2, v3
	v_addc_co_u32_e32 v4, vcc, v1, v4, vcc
	s_waitcnt lgkmcnt(0)
	global_store_dwordx4 v[3:4], v[7:10], off
	ds_read_b128 v[3:6], v0 offset:10880
	v_add_u32_e32 v7, 0x2a8, v114
	v_mov_b32_e32 v8, v115
	v_lshlrev_b64 v[7:8], 4, v[7:8]
	v_add_co_u32_e32 v11, vcc, v2, v7
	v_addc_co_u32_e32 v12, vcc, v1, v8, vcc
	ds_read_b128 v[7:10], v0 offset:11968
	s_waitcnt lgkmcnt(1)
	global_store_dwordx4 v[11:12], v[3:6], off
	s_nop 0
	v_add_u32_e32 v3, 0x2ec, v114
	v_mov_b32_e32 v4, v115
	v_lshlrev_b64 v[3:4], 4, v[3:4]
	v_add_co_u32_e32 v3, vcc, v2, v3
	v_addc_co_u32_e32 v4, vcc, v1, v4, vcc
	s_waitcnt lgkmcnt(0)
	global_store_dwordx4 v[3:4], v[7:10], off
	ds_read_b128 v[3:6], v0 offset:13056
	v_add_u32_e32 v7, 0x330, v114
	v_mov_b32_e32 v8, v115
	v_lshlrev_b64 v[7:8], 4, v[7:8]
	v_add_co_u32_e32 v11, vcc, v2, v7
	v_addc_co_u32_e32 v12, vcc, v1, v8, vcc
	ds_read_b128 v[7:10], v0 offset:14144
	s_waitcnt lgkmcnt(1)
	global_store_dwordx4 v[11:12], v[3:6], off
	s_nop 0
	v_add_u32_e32 v3, 0x374, v114
	v_mov_b32_e32 v4, v115
	v_lshlrev_b64 v[3:4], 4, v[3:4]
	v_add_co_u32_e32 v3, vcc, v2, v3
	v_addc_co_u32_e32 v4, vcc, v1, v4, vcc
	v_cmp_eq_u32_e32 vcc, s0, v114
	s_waitcnt lgkmcnt(0)
	global_store_dwordx4 v[3:4], v[7:10], off
	s_and_b64 exec, exec, vcc
	s_cbranch_execz .LBB0_25
; %bb.24:
	ds_read_b128 v[3:6], v0 offset:14160
	v_add_co_u32_e32 v0, vcc, 0x3000, v2
	v_addc_co_u32_e32 v1, vcc, 0, v1, vcc
	s_waitcnt lgkmcnt(0)
	global_store_dwordx4 v[0:1], v[3:6], off offset:2944
.LBB0_25:
	s_endpgm
	.section	.rodata,"a",@progbits
	.p2align	6, 0x0
	.amdhsa_kernel fft_rtc_back_len952_factors_17_4_2_7_wgs_204_tpt_68_halfLds_dp_op_CI_CI_unitstride_sbrr_R2C_dirReg
		.amdhsa_group_segment_fixed_size 0
		.amdhsa_private_segment_fixed_size 340
		.amdhsa_kernarg_size 104
		.amdhsa_user_sgpr_count 6
		.amdhsa_user_sgpr_private_segment_buffer 1
		.amdhsa_user_sgpr_dispatch_ptr 0
		.amdhsa_user_sgpr_queue_ptr 0
		.amdhsa_user_sgpr_kernarg_segment_ptr 1
		.amdhsa_user_sgpr_dispatch_id 0
		.amdhsa_user_sgpr_flat_scratch_init 0
		.amdhsa_user_sgpr_private_segment_size 0
		.amdhsa_uses_dynamic_stack 0
		.amdhsa_system_sgpr_private_segment_wavefront_offset 1
		.amdhsa_system_sgpr_workgroup_id_x 1
		.amdhsa_system_sgpr_workgroup_id_y 0
		.amdhsa_system_sgpr_workgroup_id_z 0
		.amdhsa_system_sgpr_workgroup_info 0
		.amdhsa_system_vgpr_workitem_id 0
		.amdhsa_next_free_vgpr 256
		.amdhsa_next_free_sgpr 64
		.amdhsa_reserve_vcc 1
		.amdhsa_reserve_flat_scratch 0
		.amdhsa_float_round_mode_32 0
		.amdhsa_float_round_mode_16_64 0
		.amdhsa_float_denorm_mode_32 3
		.amdhsa_float_denorm_mode_16_64 3
		.amdhsa_dx10_clamp 1
		.amdhsa_ieee_mode 1
		.amdhsa_fp16_overflow 0
		.amdhsa_exception_fp_ieee_invalid_op 0
		.amdhsa_exception_fp_denorm_src 0
		.amdhsa_exception_fp_ieee_div_zero 0
		.amdhsa_exception_fp_ieee_overflow 0
		.amdhsa_exception_fp_ieee_underflow 0
		.amdhsa_exception_fp_ieee_inexact 0
		.amdhsa_exception_int_div_zero 0
	.end_amdhsa_kernel
	.text
.Lfunc_end0:
	.size	fft_rtc_back_len952_factors_17_4_2_7_wgs_204_tpt_68_halfLds_dp_op_CI_CI_unitstride_sbrr_R2C_dirReg, .Lfunc_end0-fft_rtc_back_len952_factors_17_4_2_7_wgs_204_tpt_68_halfLds_dp_op_CI_CI_unitstride_sbrr_R2C_dirReg
                                        ; -- End function
	.section	.AMDGPU.csdata,"",@progbits
; Kernel info:
; codeLenInByte = 17192
; NumSgprs: 68
; NumVgprs: 256
; ScratchSize: 340
; MemoryBound: 0
; FloatMode: 240
; IeeeMode: 1
; LDSByteSize: 0 bytes/workgroup (compile time only)
; SGPRBlocks: 8
; VGPRBlocks: 63
; NumSGPRsForWavesPerEU: 68
; NumVGPRsForWavesPerEU: 256
; Occupancy: 1
; WaveLimiterHint : 1
; COMPUTE_PGM_RSRC2:SCRATCH_EN: 1
; COMPUTE_PGM_RSRC2:USER_SGPR: 6
; COMPUTE_PGM_RSRC2:TRAP_HANDLER: 0
; COMPUTE_PGM_RSRC2:TGID_X_EN: 1
; COMPUTE_PGM_RSRC2:TGID_Y_EN: 0
; COMPUTE_PGM_RSRC2:TGID_Z_EN: 0
; COMPUTE_PGM_RSRC2:TIDIG_COMP_CNT: 0
	.type	__hip_cuid_960d348cc41ac9fc,@object ; @__hip_cuid_960d348cc41ac9fc
	.section	.bss,"aw",@nobits
	.globl	__hip_cuid_960d348cc41ac9fc
__hip_cuid_960d348cc41ac9fc:
	.byte	0                               ; 0x0
	.size	__hip_cuid_960d348cc41ac9fc, 1

	.ident	"AMD clang version 19.0.0git (https://github.com/RadeonOpenCompute/llvm-project roc-6.4.0 25133 c7fe45cf4b819c5991fe208aaa96edf142730f1d)"
	.section	".note.GNU-stack","",@progbits
	.addrsig
	.addrsig_sym __hip_cuid_960d348cc41ac9fc
	.amdgpu_metadata
---
amdhsa.kernels:
  - .args:
      - .actual_access:  read_only
        .address_space:  global
        .offset:         0
        .size:           8
        .value_kind:     global_buffer
      - .offset:         8
        .size:           8
        .value_kind:     by_value
      - .actual_access:  read_only
        .address_space:  global
        .offset:         16
        .size:           8
        .value_kind:     global_buffer
      - .actual_access:  read_only
        .address_space:  global
        .offset:         24
        .size:           8
        .value_kind:     global_buffer
      - .actual_access:  read_only
        .address_space:  global
        .offset:         32
        .size:           8
        .value_kind:     global_buffer
      - .offset:         40
        .size:           8
        .value_kind:     by_value
      - .actual_access:  read_only
        .address_space:  global
        .offset:         48
        .size:           8
        .value_kind:     global_buffer
      - .actual_access:  read_only
        .address_space:  global
        .offset:         56
        .size:           8
        .value_kind:     global_buffer
      - .offset:         64
        .size:           4
        .value_kind:     by_value
      - .actual_access:  read_only
        .address_space:  global
        .offset:         72
        .size:           8
        .value_kind:     global_buffer
      - .actual_access:  read_only
        .address_space:  global
        .offset:         80
        .size:           8
        .value_kind:     global_buffer
      - .actual_access:  read_only
        .address_space:  global
        .offset:         88
        .size:           8
        .value_kind:     global_buffer
      - .actual_access:  write_only
        .address_space:  global
        .offset:         96
        .size:           8
        .value_kind:     global_buffer
    .group_segment_fixed_size: 0
    .kernarg_segment_align: 8
    .kernarg_segment_size: 104
    .language:       OpenCL C
    .language_version:
      - 2
      - 0
    .max_flat_workgroup_size: 204
    .name:           fft_rtc_back_len952_factors_17_4_2_7_wgs_204_tpt_68_halfLds_dp_op_CI_CI_unitstride_sbrr_R2C_dirReg
    .private_segment_fixed_size: 340
    .sgpr_count:     68
    .sgpr_spill_count: 0
    .symbol:         fft_rtc_back_len952_factors_17_4_2_7_wgs_204_tpt_68_halfLds_dp_op_CI_CI_unitstride_sbrr_R2C_dirReg.kd
    .uniform_work_group_size: 1
    .uses_dynamic_stack: false
    .vgpr_count:     256
    .vgpr_spill_count: 84
    .wavefront_size: 64
amdhsa.target:   amdgcn-amd-amdhsa--gfx906
amdhsa.version:
  - 1
  - 2
...

	.end_amdgpu_metadata
